;; amdgpu-corpus repo=ROCm/rocFFT kind=compiled arch=gfx950 opt=O3
	.text
	.amdgcn_target "amdgcn-amd-amdhsa--gfx950"
	.amdhsa_code_object_version 6
	.protected	bluestein_single_fwd_len660_dim1_sp_op_CI_CI ; -- Begin function bluestein_single_fwd_len660_dim1_sp_op_CI_CI
	.globl	bluestein_single_fwd_len660_dim1_sp_op_CI_CI
	.p2align	8
	.type	bluestein_single_fwd_len660_dim1_sp_op_CI_CI,@function
bluestein_single_fwd_len660_dim1_sp_op_CI_CI: ; @bluestein_single_fwd_len660_dim1_sp_op_CI_CI
; %bb.0:
	s_load_dwordx4 s[12:15], s[0:1], 0x28
	v_mul_u32_u24_e32 v1, 0x254, v0
	v_add_u32_sdwa v54, s2, v1 dst_sel:DWORD dst_unused:UNUSED_PAD src0_sel:DWORD src1_sel:WORD_1
	v_mov_b32_e32 v55, 0
	s_waitcnt lgkmcnt(0)
	v_cmp_gt_u64_e32 vcc, s[12:13], v[54:55]
	s_and_saveexec_b64 s[2:3], vcc
	s_cbranch_execz .LBB0_23
; %bb.1:
	s_load_dwordx2 s[12:13], s[0:1], 0x0
	s_load_dwordx2 s[16:17], s[0:1], 0x38
	s_movk_i32 s2, 0x6e
	v_mul_lo_u16_sdwa v1, v1, s2 dst_sel:DWORD dst_unused:UNUSED_PAD src0_sel:WORD_1 src1_sel:DWORD
	v_sub_u16_e32 v55, v0, v1
	v_cmp_gt_u16_e64 s[6:7], 60, v55
	v_lshlrev_b32_e32 v52, 3, v55
	s_and_saveexec_b64 s[2:3], s[6:7]
	s_cbranch_execz .LBB0_3
; %bb.2:
	s_load_dwordx2 s[4:5], s[0:1], 0x18
	v_mov_b32_e32 v0, s14
	v_mov_b32_e32 v1, s15
	;; [unrolled: 1-line block ×4, first 2 shown]
	s_waitcnt lgkmcnt(0)
	s_load_dwordx4 s[8:11], s[4:5], 0x0
	s_waitcnt lgkmcnt(0)
	v_mad_u64_u32 v[2:3], s[4:5], s10, v54, 0
	v_mad_u64_u32 v[4:5], s[4:5], s8, v55, 0
	v_mov_b32_e32 v6, v3
	v_mov_b32_e32 v8, v5
	v_mad_u64_u32 v[6:7], s[4:5], s11, v54, v[6:7]
	v_mov_b32_e32 v3, v6
	v_mad_u64_u32 v[6:7], s[4:5], s9, v55, v[8:9]
	v_mov_b32_e32 v5, v6
	v_lshl_add_u64 v[0:1], v[2:3], 3, v[0:1]
	v_lshl_add_u64 v[0:1], v[4:5], 3, v[0:1]
	global_load_dwordx2 v[2:3], v[0:1], off
	v_mad_u64_u32 v[0:1], s[4:5], s8, v44, v[0:1]
	s_mulk_i32 s9, 0x1e0
	v_add_u32_e32 v1, s9, v1
	v_mad_u64_u32 v[10:11], s[4:5], s8, v44, v[0:1]
	v_add_u32_e32 v11, s9, v11
	v_mad_u64_u32 v[12:13], s[4:5], s8, v44, v[10:11]
	;; [unrolled: 2-line block ×3, first 2 shown]
	v_add_u32_e32 v15, s9, v15
	global_load_dwordx2 v[6:7], v52, s[12:13]
	global_load_dwordx2 v[8:9], v52, s[12:13] offset:480
	v_lshl_add_u64 v[4:5], s[12:13], 0, v[52:53]
	global_load_dwordx2 v[0:1], v[0:1], off
	s_nop 0
	global_load_dwordx2 v[16:17], v[10:11], off
	global_load_dwordx2 v[18:19], v[12:13], off
	;; [unrolled: 1-line block ×3, first 2 shown]
	global_load_dwordx2 v[22:23], v52, s[12:13] offset:960
	v_mad_u64_u32 v[10:11], s[4:5], s8, v44, v[14:15]
	v_add_u32_e32 v11, s9, v11
	global_load_dwordx2 v[12:13], v52, s[12:13] offset:1440
	global_load_dwordx2 v[14:15], v[10:11], off
	global_load_dwordx2 v[24:25], v52, s[12:13] offset:1920
	global_load_dwordx2 v[26:27], v52, s[12:13] offset:2400
	v_mad_u64_u32 v[10:11], s[4:5], s8, v44, v[10:11]
	v_add_u32_e32 v11, s9, v11
	global_load_dwordx2 v[28:29], v[10:11], off
	v_mad_u64_u32 v[10:11], s[4:5], s8, v44, v[10:11]
	v_add_u32_e32 v11, s9, v11
	global_load_dwordx2 v[30:31], v[10:11], off
	v_mad_u64_u32 v[10:11], s[4:5], s8, v44, v[10:11]
	v_add_u32_e32 v11, s9, v11
	global_load_dwordx2 v[32:33], v52, s[12:13] offset:2880
	global_load_dwordx2 v[34:35], v[10:11], off
	global_load_dwordx2 v[36:37], v52, s[12:13] offset:3360
	global_load_dwordx2 v[38:39], v52, s[12:13] offset:3840
	v_mad_u64_u32 v[10:11], s[4:5], s8, v44, v[10:11]
	s_movk_i32 s4, 0x1000
	s_nop 0
	v_add_co_u32_e32 v4, vcc, s4, v4
	v_add_u32_e32 v11, s9, v11
	s_nop 0
	v_addc_co_u32_e32 v5, vcc, 0, v5, vcc
	global_load_dwordx2 v[40:41], v[10:11], off
	global_load_dwordx2 v[42:43], v[4:5], off offset:224
	v_mad_u64_u32 v[10:11], s[4:5], s8, v44, v[10:11]
	v_add_u32_e32 v11, s9, v11
	global_load_dwordx2 v[44:45], v[4:5], off offset:704
	global_load_dwordx2 v[46:47], v[10:11], off
	v_add_u32_e32 v10, 0x400, v52
	s_waitcnt vmcnt(20)
	v_mul_f32_e32 v4, v3, v7
	v_mul_f32_e32 v5, v2, v7
	v_fmac_f32_e32 v4, v2, v6
	v_fma_f32 v5, v3, v6, -v5
	s_waitcnt vmcnt(18)
	v_mul_f32_e32 v2, v1, v9
	v_mul_f32_e32 v3, v0, v9
	v_fmac_f32_e32 v2, v0, v8
	v_fma_f32 v3, v1, v8, -v3
	ds_write2_b64 v52, v[4:5], v[2:3] offset1:60
	s_waitcnt vmcnt(14)
	v_mul_f32_e32 v0, v17, v23
	v_mul_f32_e32 v1, v16, v23
	s_waitcnt vmcnt(13)
	v_mul_f32_e32 v2, v19, v13
	v_mul_f32_e32 v3, v18, v13
	v_fmac_f32_e32 v0, v16, v22
	v_fma_f32 v1, v17, v22, -v1
	v_fmac_f32_e32 v2, v18, v12
	v_fma_f32 v3, v19, v12, -v3
	ds_write2_b64 v52, v[0:1], v[2:3] offset0:120 offset1:180
	s_waitcnt vmcnt(11)
	v_mul_f32_e32 v0, v21, v25
	v_mul_f32_e32 v1, v20, v25
	s_waitcnt vmcnt(10)
	v_mul_f32_e32 v2, v15, v27
	v_mul_f32_e32 v3, v14, v27
	v_fmac_f32_e32 v0, v20, v24
	v_fma_f32 v1, v21, v24, -v1
	v_fmac_f32_e32 v2, v14, v26
	v_fma_f32 v3, v15, v26, -v3
	ds_write2_b64 v10, v[0:1], v[2:3] offset0:112 offset1:172
	s_waitcnt vmcnt(7)
	v_mul_f32_e32 v0, v29, v33
	v_mul_f32_e32 v1, v28, v33
	s_waitcnt vmcnt(5)
	v_mul_f32_e32 v2, v31, v37
	v_mul_f32_e32 v3, v30, v37
	v_fmac_f32_e32 v0, v28, v32
	v_fma_f32 v1, v29, v32, -v1
	v_fmac_f32_e32 v2, v30, v36
	v_fma_f32 v3, v31, v36, -v3
	v_add_u32_e32 v4, 0x800, v52
	ds_write2_b64 v4, v[0:1], v[2:3] offset0:104 offset1:164
	s_waitcnt vmcnt(4)
	v_mul_f32_e32 v0, v35, v39
	v_mul_f32_e32 v1, v34, v39
	s_waitcnt vmcnt(2)
	v_mul_f32_e32 v2, v41, v43
	v_mul_f32_e32 v3, v40, v43
	v_fmac_f32_e32 v0, v34, v38
	v_fma_f32 v1, v35, v38, -v1
	v_fmac_f32_e32 v2, v40, v42
	v_fma_f32 v3, v41, v42, -v3
	v_add_u32_e32 v4, 0xc00, v52
	ds_write2_b64 v4, v[0:1], v[2:3] offset0:96 offset1:156
	s_waitcnt vmcnt(0)
	v_mul_f32_e32 v0, v47, v45
	v_mul_f32_e32 v1, v46, v45
	v_fmac_f32_e32 v0, v46, v44
	v_fma_f32 v1, v47, v44, -v1
	ds_write_b64 v52, v[0:1] offset:4800
.LBB0_3:
	s_or_b64 exec, exec, s[2:3]
	s_load_dwordx2 s[2:3], s[0:1], 0x20
	s_load_dwordx2 s[14:15], s[0:1], 0x8
	v_mov_b64_e32 v[0:1], 0
	s_waitcnt lgkmcnt(0)
	s_barrier
	s_waitcnt lgkmcnt(0)
                                        ; implicit-def: $vgpr8
                                        ; implicit-def: $vgpr6
                                        ; implicit-def: $vgpr16
                                        ; implicit-def: $vgpr14
                                        ; implicit-def: $vgpr20
	s_and_saveexec_b64 s[0:1], s[6:7]
	s_cbranch_execz .LBB0_5
; %bb.4:
	v_add_u32_e32 v4, 0x400, v52
	v_add_u32_e32 v8, 0x800, v52
	;; [unrolled: 1-line block ×3, first 2 shown]
	ds_read2_b64 v[0:3], v52 offset1:60
	ds_read2_b64 v[12:15], v52 offset0:120 offset1:180
	ds_read2_b64 v[4:7], v4 offset0:112 offset1:172
	;; [unrolled: 1-line block ×4, first 2 shown]
	ds_read_b64 v[20:21], v52 offset:4800
.LBB0_5:
	s_or_b64 exec, exec, s[0:1]
	s_waitcnt lgkmcnt(0)
	v_pk_add_f32 v[116:117], v[2:3], v[20:21] neg_lo:[0,1] neg_hi:[0,1]
	s_mov_b32 s8, 0xbf68dda4
	v_pk_add_f32 v[58:59], v[20:21], v[2:3]
	v_pk_add_f32 v[118:119], v[12:13], v[18:19] neg_lo:[0,1] neg_hi:[0,1]
	s_mov_b32 s0, 0x3ed4b147
	s_mov_b32 s20, 0xbf4178ce
	v_pk_mul_f32 v[24:25], v[116:117], s[8:9] op_sel_hi:[1,0]
	v_pk_add_f32 v[120:121], v[18:19], v[12:13]
	v_pk_add_f32 v[124:125], v[14:15], v[16:17] neg_lo:[0,1] neg_hi:[0,1]
	s_mov_b32 s18, 0xbf27a4f4
	v_pk_fma_f32 v[22:23], v[58:59], s[0:1], v[24:25] op_sel:[0,0,1] op_sel_hi:[1,0,0]
	v_pk_fma_f32 v[32:33], v[58:59], s[0:1], v[24:25] op_sel:[0,0,1] op_sel_hi:[1,0,0] neg_lo:[0,0,1] neg_hi:[0,0,1]
	v_pk_mul_f32 v[26:27], v[118:119], s[20:21] op_sel_hi:[1,0]
	s_mov_b32 s24, 0x3e903f40
	v_pk_add_f32 v[126:127], v[16:17], v[14:15]
	v_pk_add_f32 v[128:129], v[4:5], v[10:11] neg_lo:[0,1] neg_hi:[0,1]
	s_mov_b32 s22, 0xbf75a155
	v_mov_b32_e32 v24, v22
	v_mov_b32_e32 v25, v33
	v_pk_fma_f32 v[34:35], v[120:121], s[18:19], v[26:27] op_sel:[0,0,1] op_sel_hi:[1,0,0]
	v_pk_fma_f32 v[36:37], v[120:121], s[18:19], v[26:27] op_sel:[0,0,1] op_sel_hi:[1,0,0] neg_lo:[0,0,1] neg_hi:[0,0,1]
	v_pk_mul_f32 v[28:29], v[124:125], s[24:25] op_sel_hi:[1,0]
	s_mov_b32 s30, 0x3f7d64f0
	v_pk_add_f32 v[130:131], v[10:11], v[4:5]
	s_mov_b32 s4, 0xbe11bafb
	v_mov_b32_e32 v26, v34
	v_mov_b32_e32 v27, v37
	v_pk_fma_f32 v[38:39], v[126:127], s[22:23], v[28:29] op_sel:[0,0,1] op_sel_hi:[1,0,0]
	v_pk_fma_f32 v[40:41], v[126:127], s[22:23], v[28:29] op_sel:[0,0,1] op_sel_hi:[1,0,0] neg_lo:[0,0,1] neg_hi:[0,0,1]
	v_pk_mul_f32 v[30:31], v[128:129], s[30:31] op_sel_hi:[1,0]
	v_pk_add_f32 v[24:25], v[24:25], v[0:1]
	v_mov_b32_e32 v28, v38
	v_mov_b32_e32 v29, v41
	v_pk_add_f32 v[24:25], v[26:27], v[24:25]
	v_pk_fma_f32 v[42:43], v[130:131], s[4:5], v[30:31] op_sel:[0,0,1] op_sel_hi:[1,0,0]
	v_pk_fma_f32 v[44:45], v[130:131], s[4:5], v[30:31] op_sel:[0,0,1] op_sel_hi:[1,0,0] neg_lo:[0,0,1] neg_hi:[0,0,1]
	s_mov_b32 s10, 0xbf7d64f0
	v_pk_add_f32 v[24:25], v[28:29], v[24:25]
	v_mov_b32_e32 v26, v42
	v_mov_b32_e32 v27, v45
	v_pk_add_f32 v[24:25], v[26:27], v[24:25]
	v_pk_mul_f32 v[26:27], v[116:117], s[10:11] op_sel_hi:[1,0]
	v_pk_mul_f32 v[28:29], v[118:119], s[24:25] op_sel_hi:[1,0]
	v_pk_fma_f32 v[46:47], v[58:59], s[4:5], v[26:27] op_sel:[0,0,1] op_sel_hi:[1,0,0]
	v_pk_fma_f32 v[48:49], v[58:59], s[4:5], v[26:27] op_sel:[0,0,1] op_sel_hi:[1,0,0] neg_lo:[0,0,1] neg_hi:[0,0,1]
	v_mov_b32_e32 v26, v46
	v_mov_b32_e32 v27, v49
	v_pk_fma_f32 v[50:51], v[120:121], s[22:23], v[28:29] op_sel:[0,0,1] op_sel_hi:[1,0,0]
	v_pk_fma_f32 v[56:57], v[120:121], s[22:23], v[28:29] op_sel:[0,0,1] op_sel_hi:[1,0,0] neg_lo:[0,0,1] neg_hi:[0,0,1]
	v_mov_b32_e32 v28, v50
	v_mov_b32_e32 v29, v57
	v_pk_add_f32 v[26:27], v[26:27], v[0:1]
	s_mov_b32 s28, 0x3f68dda4
	v_pk_add_f32 v[26:27], v[28:29], v[26:27]
	v_pk_mul_f32 v[28:29], v[124:125], s[28:29] op_sel_hi:[1,0]
	s_mov_b32 s26, 0xbf0a6770
	v_pk_fma_f32 v[60:61], v[126:127], s[0:1], v[28:29] op_sel:[0,0,1] op_sel_hi:[1,0,0]
	v_pk_fma_f32 v[62:63], v[126:127], s[0:1], v[28:29] op_sel:[0,0,1] op_sel_hi:[1,0,0] neg_lo:[0,0,1] neg_hi:[0,0,1]
	v_mov_b32_e32 v28, v60
	v_mov_b32_e32 v29, v63
	v_pk_add_f32 v[26:27], v[28:29], v[26:27]
	s_mov_b32 s24, 0x3f575c64
	v_pk_mul_f32 v[28:29], v[128:129], s[26:27] op_sel_hi:[1,0]
	s_mov_b32 s34, 0x3f0a6770
	v_pk_fma_f32 v[64:65], v[130:131], s[24:25], v[28:29] op_sel:[0,0,1] op_sel_hi:[1,0,0]
	v_pk_fma_f32 v[66:67], v[130:131], s[24:25], v[28:29] op_sel:[0,0,1] op_sel_hi:[1,0,0] neg_lo:[0,0,1] neg_hi:[0,0,1]
	v_mov_b32_e32 v28, v64
	v_mov_b32_e32 v29, v67
	v_pk_add_f32 v[132:133], v[6:7], v[8:9] neg_lo:[0,1] neg_hi:[0,1]
	v_pk_add_f32 v[28:29], v[28:29], v[26:27]
	v_pk_add_f32 v[134:135], v[8:9], v[6:7]
	v_pk_mul_f32 v[26:27], v[132:133], s[34:35] op_sel_hi:[1,0]
	v_pk_mul_f32 v[30:31], v[118:119], s[30:31] op_sel_hi:[1,0]
	v_pk_fma_f32 v[80:81], v[134:135], s[24:25], v[26:27] op_sel:[0,0,1] op_sel_hi:[1,0,0]
	v_pk_fma_f32 v[82:83], v[134:135], s[24:25], v[26:27] op_sel:[0,0,1] op_sel_hi:[1,0,0] neg_lo:[0,0,1] neg_hi:[0,0,1]
	v_mov_b32_e32 v26, v80
	v_mov_b32_e32 v27, v83
	v_pk_add_f32 v[26:27], v[26:27], v[24:25]
	v_pk_mul_f32 v[24:25], v[132:133], s[20:21] op_sel_hi:[1,0]
	v_pk_fma_f32 v[72:73], v[120:121], s[4:5], v[30:31] op_sel:[0,0,1] op_sel_hi:[1,0,0]
	v_pk_fma_f32 v[76:77], v[134:135], s[18:19], v[24:25] op_sel:[0,0,1] op_sel_hi:[1,0,0]
	v_pk_fma_f32 v[78:79], v[134:135], s[18:19], v[24:25] op_sel:[0,0,1] op_sel_hi:[1,0,0] neg_lo:[0,0,1] neg_hi:[0,0,1]
	v_mov_b32_e32 v24, v76
	v_mov_b32_e32 v25, v79
	v_pk_add_f32 v[24:25], v[24:25], v[28:29]
	v_pk_mul_f32 v[28:29], v[116:117], s[20:21] op_sel_hi:[1,0]
	v_pk_fma_f32 v[74:75], v[120:121], s[4:5], v[30:31] op_sel:[0,0,1] op_sel_hi:[1,0,0] neg_lo:[0,0,1] neg_hi:[0,0,1]
	v_pk_fma_f32 v[68:69], v[58:59], s[18:19], v[28:29] op_sel:[0,0,1] op_sel_hi:[1,0,0]
	v_pk_fma_f32 v[70:71], v[58:59], s[18:19], v[28:29] op_sel:[0,0,1] op_sel_hi:[1,0,0] neg_lo:[0,0,1] neg_hi:[0,0,1]
	v_mov_b32_e32 v28, v68
	v_mov_b32_e32 v29, v71
	;; [unrolled: 1-line block ×4, first 2 shown]
	v_pk_add_f32 v[28:29], v[28:29], v[0:1]
	s_mov_b32 s30, 0xbe903f40
	v_pk_add_f32 v[28:29], v[30:31], v[28:29]
	v_pk_mul_f32 v[30:31], v[124:125], s[26:27] op_sel_hi:[1,0]
	v_pk_mul_f32 v[98:99], v[118:119], s[34:35] op_sel_hi:[1,0]
	v_pk_fma_f32 v[84:85], v[126:127], s[24:25], v[30:31] op_sel:[0,0,1] op_sel_hi:[1,0,0]
	v_pk_fma_f32 v[86:87], v[126:127], s[24:25], v[30:31] op_sel:[0,0,1] op_sel_hi:[1,0,0] neg_lo:[0,0,1] neg_hi:[0,0,1]
	v_mov_b32_e32 v30, v84
	v_mov_b32_e32 v31, v87
	v_pk_add_f32 v[28:29], v[30:31], v[28:29]
	v_pk_mul_f32 v[30:31], v[128:129], s[30:31] op_sel_hi:[1,0]
	v_pk_fma_f32 v[96:97], v[120:121], s[24:25], v[98:99] op_sel:[0,0,1] op_sel_hi:[1,0,0]
	v_pk_fma_f32 v[88:89], v[130:131], s[22:23], v[30:31] op_sel:[0,0,1] op_sel_hi:[1,0,0]
	v_pk_fma_f32 v[90:91], v[130:131], s[22:23], v[30:31] op_sel:[0,0,1] op_sel_hi:[1,0,0] neg_lo:[0,0,1] neg_hi:[0,0,1]
	v_mov_b32_e32 v30, v88
	v_mov_b32_e32 v31, v91
	v_pk_add_f32 v[28:29], v[30:31], v[28:29]
	v_pk_mul_f32 v[30:31], v[116:117], s[30:31] op_sel_hi:[1,0]
	v_pk_fma_f32 v[98:99], v[120:121], s[24:25], v[98:99] op_sel:[0,0,1] op_sel_hi:[1,0,0] neg_lo:[0,0,1] neg_hi:[0,0,1]
	v_pk_fma_f32 v[92:93], v[58:59], s[22:23], v[30:31] op_sel:[0,0,1] op_sel_hi:[1,0,0]
	v_pk_fma_f32 v[94:95], v[58:59], s[22:23], v[30:31] op_sel:[0,0,1] op_sel_hi:[1,0,0] neg_lo:[0,0,1] neg_hi:[0,0,1]
	v_mov_b32_e32 v30, v92
	v_mov_b32_e32 v31, v95
	;; [unrolled: 1-line block ×4, first 2 shown]
	v_pk_add_f32 v[30:31], v[30:31], v[0:1]
	v_pk_mul_f32 v[102:103], v[124:125], s[20:21] op_sel_hi:[1,0]
	v_pk_add_f32 v[30:31], v[100:101], v[30:31]
	v_pk_fma_f32 v[100:101], v[126:127], s[18:19], v[102:103] op_sel:[0,0,1] op_sel_hi:[1,0,0]
	v_pk_fma_f32 v[102:103], v[126:127], s[18:19], v[102:103] op_sel:[0,0,1] op_sel_hi:[1,0,0] neg_lo:[0,0,1] neg_hi:[0,0,1]
	v_mov_b32_e32 v104, v100
	v_mov_b32_e32 v105, v103
	v_pk_mul_f32 v[106:107], v[128:129], s[28:29] op_sel_hi:[1,0]
	v_pk_add_f32 v[30:31], v[104:105], v[30:31]
	v_pk_fma_f32 v[104:105], v[130:131], s[0:1], v[106:107] op_sel:[0,0,1] op_sel_hi:[1,0,0]
	v_pk_fma_f32 v[106:107], v[130:131], s[0:1], v[106:107] op_sel:[0,0,1] op_sel_hi:[1,0,0] neg_lo:[0,0,1] neg_hi:[0,0,1]
	v_mov_b32_e32 v108, v104
	v_mov_b32_e32 v109, v107
	v_pk_add_f32 v[122:123], v[108:109], v[30:31]
	v_pk_mul_f32 v[30:31], v[132:133], s[28:29] op_sel_hi:[1,0]
	v_mul_lo_u16_e32 v172, 11, v55
	v_pk_fma_f32 v[112:113], v[134:135], s[0:1], v[30:31] op_sel:[0,0,1] op_sel_hi:[1,0,0]
	v_pk_fma_f32 v[114:115], v[134:135], s[0:1], v[30:31] op_sel:[0,0,1] op_sel_hi:[1,0,0] neg_lo:[0,0,1] neg_hi:[0,0,1]
	v_mov_b32_e32 v30, v112
	v_mov_b32_e32 v31, v115
	v_pk_add_f32 v[30:31], v[30:31], v[28:29]
	v_pk_mul_f32 v[28:29], v[132:133], s[10:11] op_sel_hi:[1,0]
	s_nop 0
	v_pk_fma_f32 v[108:109], v[134:135], s[4:5], v[28:29] op_sel:[0,0,1] op_sel_hi:[1,0,0]
	v_pk_fma_f32 v[110:111], v[134:135], s[4:5], v[28:29] op_sel:[0,0,1] op_sel_hi:[1,0,0] neg_lo:[0,0,1] neg_hi:[0,0,1]
	v_mov_b32_e32 v28, v108
	v_mov_b32_e32 v29, v111
	v_pk_add_f32 v[28:29], v[28:29], v[122:123]
	v_pk_mul_f32 v[122:123], v[116:117], s[26:27] op_sel_hi:[1,0]
	s_barrier
	v_pk_fma_f32 v[116:117], v[58:59], s[24:25], v[122:123] op_sel:[0,0,1] op_sel_hi:[1,0,0]
	v_pk_fma_f32 v[122:123], v[58:59], s[24:25], v[122:123] op_sel:[0,0,1] op_sel_hi:[1,0,0] neg_lo:[0,0,1] neg_hi:[0,0,1]
	v_pk_mul_f32 v[58:59], v[118:119], s[8:9] op_sel_hi:[1,0]
	s_nop 0
	v_pk_fma_f32 v[118:119], v[120:121], s[0:1], v[58:59] op_sel:[0,0,1] op_sel_hi:[1,0,0]
	v_pk_fma_f32 v[120:121], v[120:121], s[0:1], v[58:59] op_sel:[0,0,1] op_sel_hi:[1,0,0] neg_lo:[0,0,1] neg_hi:[0,0,1]
	v_mov_b32_e32 v58, v116
	v_mov_b32_e32 v59, v123
	v_pk_add_f32 v[58:59], v[58:59], v[0:1]
	v_mov_b32_e32 v136, v118
	v_mov_b32_e32 v137, v121
	v_pk_add_f32 v[58:59], v[136:137], v[58:59]
	v_pk_mul_f32 v[136:137], v[124:125], s[10:11] op_sel_hi:[1,0]
	s_nop 0
	v_pk_fma_f32 v[124:125], v[126:127], s[4:5], v[136:137] op_sel:[0,0,1] op_sel_hi:[1,0,0]
	v_pk_fma_f32 v[126:127], v[126:127], s[4:5], v[136:137] op_sel:[0,0,1] op_sel_hi:[1,0,0] neg_lo:[0,0,1] neg_hi:[0,0,1]
	v_mov_b32_e32 v136, v124
	v_mov_b32_e32 v137, v127
	v_pk_add_f32 v[58:59], v[136:137], v[58:59]
	v_pk_mul_f32 v[136:137], v[128:129], s[20:21] op_sel_hi:[1,0]
	s_nop 0
	v_pk_fma_f32 v[128:129], v[130:131], s[18:19], v[136:137] op_sel:[0,0,1] op_sel_hi:[1,0,0]
	v_pk_fma_f32 v[130:131], v[130:131], s[18:19], v[136:137] op_sel:[0,0,1] op_sel_hi:[1,0,0] neg_lo:[0,0,1] neg_hi:[0,0,1]
	;; [unrolled: 7-line block ×3, first 2 shown]
	v_mov_b32_e32 v136, v132
	v_mov_b32_e32 v137, v135
	v_pk_add_f32 v[58:59], v[136:137], v[58:59]
	s_and_saveexec_b64 s[0:1], s[6:7]
	s_cbranch_execz .LBB0_7
; %bb.6:
	v_pk_add_f32 v[2:3], v[2:3], v[0:1]
	v_mov_b32_e32 v123, v117
	v_pk_add_f32 v[2:3], v[12:13], v[2:3]
	v_mov_b32_e32 v121, v119
	;; [unrolled: 2-line block ×3, first 2 shown]
	v_pk_add_f32 v[2:3], v[4:5], v[2:3]
	v_pk_add_f32 v[4:5], v[122:123], v[0:1]
	;; [unrolled: 1-line block ×7, first 2 shown]
	v_mov_b32_e32 v131, v129
	v_pk_add_f32 v[2:3], v[16:17], v[2:3]
	v_pk_add_f32 v[4:5], v[130:131], v[4:5]
	;; [unrolled: 1-line block ×3, first 2 shown]
	v_mov_b32_e32 v135, v133
	v_lshlrev_b32_e32 v6, 3, v172
	v_pk_add_f32 v[2:3], v[20:21], v[2:3]
	v_pk_add_f32 v[4:5], v[134:135], v[4:5]
	v_mov_b32_e32 v33, v23
	v_mov_b32_e32 v49, v47
	ds_write2_b64 v6, v[2:3], v[4:5] offset1:1
	v_pk_add_f32 v[2:3], v[32:33], v[0:1]
	v_mov_b32_e32 v37, v35
	v_pk_add_f32 v[4:5], v[48:49], v[0:1]
	v_mov_b32_e32 v57, v51
	;; [unrolled: 2-line block ×8, first 2 shown]
	v_pk_add_f32 v[2:3], v[82:83], v[2:3]
	v_pk_add_f32 v[4:5], v[78:79], v[4:5]
	v_mov_b32_e32 v71, v69
	v_mov_b32_e32 v95, v93
	ds_write2_b64 v6, v[2:3], v[4:5] offset0:2 offset1:3
	v_pk_add_f32 v[2:3], v[70:71], v[0:1]
	v_mov_b32_e32 v75, v73
	v_pk_add_f32 v[0:1], v[94:95], v[0:1]
	v_mov_b32_e32 v99, v97
	;; [unrolled: 2-line block ×8, first 2 shown]
	v_pk_add_f32 v[2:3], v[114:115], v[2:3]
	v_pk_add_f32 v[0:1], v[110:111], v[0:1]
	ds_write2_b64 v6, v[2:3], v[0:1] offset0:4 offset1:5
	ds_write2_b64 v6, v[28:29], v[30:31] offset0:6 offset1:7
	;; [unrolled: 1-line block ×3, first 2 shown]
	ds_write_b64 v6, v[58:59] offset:80
.LBB0_7:
	s_or_b64 exec, exec, s[0:1]
	s_movk_i32 s0, 0x75
	v_mul_lo_u16_sdwa v0, v55, s0 dst_sel:DWORD dst_unused:UNUSED_PAD src0_sel:BYTE_0 src1_sel:DWORD
	v_sub_u16_sdwa v1, v55, v0 dst_sel:DWORD dst_unused:UNUSED_PAD src0_sel:DWORD src1_sel:BYTE_1
	v_lshrrev_b16_e32 v1, 1, v1
	v_and_b32_e32 v1, 0x7f, v1
	v_add_u16_sdwa v0, v1, v0 dst_sel:DWORD dst_unused:UNUSED_PAD src0_sel:DWORD src1_sel:BYTE_1
	v_lshrrev_b16_e32 v20, 3, v0
	v_mul_lo_u16_e32 v0, 11, v20
	v_sub_u16_e32 v0, v55, v0
	v_and_b32_e32 v21, 0xff, v0
	v_mad_u64_u32 v[8:9], s[0:1], v21, 40, s[14:15]
	s_load_dwordx4 s[8:11], s[2:3], 0x0
	s_waitcnt lgkmcnt(0)
	s_barrier
	global_load_dwordx4 v[4:7], v[8:9], off
	global_load_dwordx4 v[0:3], v[8:9], off offset:16
	global_load_dwordx2 v[56:57], v[8:9], off offset:32
	v_add_u32_e32 v12, 0x400, v52
	v_add_u32_e32 v16, 0xc00, v52
	ds_read2_b64 v[8:11], v52 offset1:110
	ds_read2_b64 v[12:15], v12 offset0:92 offset1:202
	ds_read2_b64 v[16:19], v16 offset0:56 offset1:166
	v_mul_u32_u24_e32 v20, 0x42, v20
	v_add_lshl_u32 v173, v20, v21, 3
	s_mov_b32 s0, 0x3f5db3d7
	s_mov_b32 s1, 0xbf5db3d7
	s_movk_i32 s2, 0x42
	v_cmp_gt_u16_e64 s[2:3], s2, v55
	s_waitcnt lgkmcnt(0)
	s_barrier
	s_waitcnt vmcnt(2)
	v_pk_mul_f32 v[20:21], v[10:11], v[4:5] op_sel_hi:[1,0]
	v_mov_b32_e32 v22, v5
	v_mov_b32_e32 v32, v7
	s_waitcnt vmcnt(1)
	v_pk_mul_f32 v[34:35], v[14:15], v[0:1] op_sel_hi:[1,0]
	v_mov_b32_e32 v36, v1
	v_mov_b32_e32 v38, v3
	s_waitcnt vmcnt(0)
	v_pk_mul_f32 v[40:41], v[18:19], v[56:57] op_sel_hi:[1,0]
	v_mov_b32_e32 v42, v57
	v_pk_fma_f32 v[22:23], v[10:11], v[22:23], v[20:21] op_sel:[0,0,1] op_sel_hi:[1,1,0]
	v_pk_fma_f32 v[10:11], v[10:11], v[4:5], v[20:21] op_sel:[0,1,1] op_sel_hi:[1,1,0] neg_lo:[1,0,0] neg_hi:[1,0,0]
	v_pk_mul_f32 v[20:21], v[12:13], v[32:33] op_sel_hi:[1,0]
	v_pk_fma_f32 v[32:33], v[14:15], v[36:37], v[34:35] op_sel:[0,0,1] op_sel_hi:[1,1,0]
	v_pk_fma_f32 v[14:15], v[14:15], v[0:1], v[34:35] op_sel:[0,1,1] op_sel_hi:[1,1,0] neg_lo:[1,0,0] neg_hi:[1,0,0]
	v_pk_mul_f32 v[34:35], v[16:17], v[38:39] op_sel_hi:[1,0]
	v_pk_fma_f32 v[36:37], v[18:19], v[42:43], v[40:41] op_sel:[0,0,1] op_sel_hi:[1,1,0]
	v_pk_fma_f32 v[18:19], v[18:19], v[56:57], v[40:41] op_sel:[0,1,1] op_sel_hi:[1,1,0] neg_lo:[1,0,0] neg_hi:[1,0,0]
	v_mov_b32_e32 v23, v11
	v_pk_fma_f32 v[10:11], v[12:13], v[6:7], v[20:21] op_sel:[0,0,1] op_sel_hi:[1,1,0] neg_lo:[0,0,1] neg_hi:[0,0,1]
	v_pk_fma_f32 v[12:13], v[12:13], v[6:7], v[20:21] op_sel:[0,0,1] op_sel_hi:[1,0,0]
	v_mov_b32_e32 v33, v15
	v_pk_fma_f32 v[14:15], v[16:17], v[2:3], v[34:35] op_sel:[0,0,1] op_sel_hi:[1,1,0] neg_lo:[0,0,1] neg_hi:[0,0,1]
	v_pk_fma_f32 v[16:17], v[16:17], v[2:3], v[34:35] op_sel:[0,0,1] op_sel_hi:[1,0,0]
	v_mov_b32_e32 v37, v19
	v_mov_b32_e32 v11, v13
	;; [unrolled: 1-line block ×3, first 2 shown]
	v_pk_add_f32 v[12:13], v[32:33], v[36:37]
	v_pk_add_f32 v[16:17], v[32:33], v[36:37] neg_lo:[0,1] neg_hi:[0,1]
	v_pk_add_f32 v[18:19], v[22:23], v[32:33]
	v_pk_add_f32 v[20:21], v[10:11], v[14:15]
	v_pk_add_f32 v[32:33], v[10:11], v[14:15] neg_lo:[0,1] neg_hi:[0,1]
	v_pk_fma_f32 v[12:13], v[12:13], 0.5, v[22:23] op_sel_hi:[1,0,1] neg_lo:[1,0,0] neg_hi:[1,0,0]
	v_pk_mul_f32 v[16:17], v[16:17], s[0:1] op_sel_hi:[1,0]
	v_pk_add_f32 v[10:11], v[8:9], v[10:11]
	v_pk_fma_f32 v[8:9], v[20:21], 0.5, v[8:9] op_sel_hi:[1,0,1] neg_lo:[1,0,0] neg_hi:[1,0,0]
	v_pk_mul_f32 v[20:21], v[32:33], s[0:1] op_sel_hi:[1,0]
	v_pk_add_f32 v[22:23], v[16:17], v[12:13] op_sel:[1,0] op_sel_hi:[0,1]
	v_pk_add_f32 v[12:13], v[12:13], v[16:17] op_sel:[0,1] op_sel_hi:[1,0] neg_lo:[0,1] neg_hi:[0,1]
	v_pk_add_f32 v[18:19], v[18:19], v[36:37]
	v_pk_add_f32 v[10:11], v[10:11], v[14:15]
	v_mov_b32_e32 v14, v21
	v_pk_add_f32 v[16:17], v[8:9], v[20:21] op_sel:[0,1] op_sel_hi:[1,0] neg_lo:[0,1] neg_hi:[0,1]
	v_pk_add_f32 v[34:35], v[8:9], v[20:21] op_sel:[0,1] op_sel_hi:[1,0]
	v_mov_b32_e32 v37, v13
	v_mul_f32_e32 v15, 0.5, v23
	v_mul_f32_e32 v41, 0x3f5db3d7, v12
	v_mov_b32_e32 v40, v8
	v_mul_f32_e32 v21, 0x3f5db3d7, v23
	v_mul_f32_e32 v13, 0.5, v12
	v_mov_b32_e32 v12, v9
	v_mov_b32_e32 v36, v22
	v_pk_add_f32 v[8:9], v[14:15], v[40:41]
	v_pk_add_f32 v[12:13], v[12:13], v[20:21] neg_lo:[0,1] neg_hi:[0,1]
	v_pk_add_f32 v[32:33], v[10:11], v[18:19] op_sel:[0,1] op_sel_hi:[1,0]
	v_pk_add_f32 v[38:39], v[10:11], v[18:19] op_sel:[0,1] op_sel_hi:[1,0] neg_lo:[0,1] neg_hi:[0,1]
	v_pk_mul_f32 v[14:15], v[36:37], 0.5 op_sel_hi:[1,0]
	v_mov_b32_e32 v21, v12
	v_mov_b32_e32 v18, v9
	v_mov_b32_e32 v11, v12
	v_mov_b32_e32 v12, v19
	v_mov_b32_e32 v17, v35
	v_mov_b32_e32 v20, v8
	v_mov_b32_e32 v22, v9
	v_mov_b32_e32 v23, v13
	v_pk_fma_f32 v[14:15], v[36:37], s[0:1], v[14:15] op_sel:[0,0,1] op_sel_hi:[1,1,0] neg_lo:[0,0,1] neg_hi:[0,0,1]
	v_pk_add_f32 v[40:41], v[8:9], v[18:19] neg_lo:[0,1] neg_hi:[0,1]
	v_pk_add_f32 v[44:45], v[10:11], v[12:13] neg_lo:[0,1] neg_hi:[0,1]
	s_movk_i32 s0, 0x41
	v_pk_add_f32 v[34:35], v[20:21], v[22:23]
	v_pk_add_f32 v[36:37], v[16:17], v[14:15]
	v_pk_add_f32 v[42:43], v[16:17], v[14:15] neg_lo:[0,1] neg_hi:[0,1]
	v_mov_b32_e32 v38, v44
	v_mov_b32_e32 v41, v45
	v_cmp_lt_u16_e64 s[4:5], s0, v55
	ds_write2_b64 v173, v[32:33], v[34:35] offset1:11
	ds_write2_b64 v173, v[36:37], v[38:39] offset0:22 offset1:33
	ds_write2_b64 v173, v[40:41], v[42:43] offset0:44 offset1:55
	s_waitcnt lgkmcnt(0)
	s_barrier
	s_and_saveexec_b64 s[0:1], s[4:5]
	s_xor_b64 s[0:1], exec, s[0:1]
	s_andn2_saveexec_b64 s[0:1], s[0:1]
	s_cbranch_execz .LBB0_9
; %bb.8:
	v_add_u32_e32 v8, 0x800, v52
	ds_read2_b64 v[32:35], v52 offset1:66
	ds_read2_b64 v[36:39], v52 offset0:132 offset1:198
	ds_read2_b64 v[40:43], v8 offset0:8 offset1:74
	;; [unrolled: 1-line block ×3, first 2 shown]
	v_add_u32_e32 v8, 0x1000, v52
	ds_read2_b64 v[24:27], v8 offset0:16 offset1:82
	s_waitcnt lgkmcnt(3)
	v_mov_b32_e32 v44, v38
	s_waitcnt lgkmcnt(2)
	v_mov_b32_e32 v45, v41
.LBB0_9:
	s_or_b64 exec, exec, s[0:1]
	v_add_u32_e32 v8, 0xffffffbe, v55
	v_cndmask_b32_e64 v8, v8, v55, s[2:3]
	v_mul_hi_i32_i24_e32 v9, 0x48, v8
	v_mul_i32_i24_e32 v8, 0x48, v8
	v_lshl_add_u64 v[46:47], s[14:15], 0, v[8:9]
	global_load_dwordx4 v[8:11], v[46:47], off offset:440
	global_load_dwordx4 v[20:23], v[46:47], off offset:456
	;; [unrolled: 1-line block ×4, first 2 shown]
	global_load_dwordx2 v[60:61], v[46:47], off offset:504
	v_mov_b32_e32 v38, v35
	v_mov_b32_e32 v46, v43
	s_mov_b32 s0, 0x3f737871
	s_mov_b32 s1, 0xbf737871
	;; [unrolled: 1-line block ×6, first 2 shown]
	s_waitcnt vmcnt(4)
	v_pk_mul_f32 v[48:49], v[34:35], v[8:9]
	s_waitcnt vmcnt(3)
	v_mul_f32_e32 v41, v44, v20
	v_mul_f32_e32 v51, v44, v21
	s_waitcnt vmcnt(2) lgkmcnt(1)
	v_pk_mul_f32 v[64:65], v[28:29], v[18:19] op_sel:[1,0]
	s_waitcnt vmcnt(1) lgkmcnt(0)
	v_pk_mul_f32 v[66:67], v[24:25], v[14:15] op_sel:[1,0]
	v_pk_mul_f32 v[68:69], v[30:31], v[12:13] op_sel:[1,0]
	s_waitcnt vmcnt(0)
	v_pk_mul_f32 v[70:71], v[26:27], v[60:61] op_sel:[1,0]
	v_pk_mul_f32 v[72:73], v[36:37], v[10:11] op_sel:[1,0]
	;; [unrolled: 1-line block ×3, first 2 shown]
	v_mov_b32_e32 v48, v9
	v_pk_mul_f32 v[62:63], v[42:43], v[16:17]
	v_fma_f32 v50, -v39, v21, v41
	v_pk_fma_f32 v[78:79], v[28:29], v[18:19], v[64:65] op_sel:[0,0,1] op_sel_hi:[1,1,0] neg_lo:[0,0,1] neg_hi:[0,0,1]
	v_pk_fma_f32 v[28:29], v[28:29], v[18:19], v[64:65] op_sel:[0,0,1] op_sel_hi:[0,1,0]
	v_pk_fma_f32 v[64:65], v[24:25], v[14:15], v[66:67] op_sel:[0,0,1] op_sel_hi:[1,1,0] neg_lo:[0,0,1] neg_hi:[0,0,1]
	v_pk_fma_f32 v[24:25], v[24:25], v[14:15], v[66:67] op_sel:[0,0,1] op_sel_hi:[0,1,0]
	;; [unrolled: 2-line block ×6, first 2 shown]
	v_mov_b32_e32 v62, v17
	v_mov_b32_e32 v74, v49
	v_pk_mul_f32 v[48:49], v[34:35], v[48:49]
	v_mov_b32_e32 v79, v29
	v_mov_b32_e32 v73, v41
	v_fmac_f32_e32 v51, v39, v20
	v_mov_b32_e32 v76, v63
	v_pk_mul_f32 v[62:63], v[42:43], v[62:63]
	v_pk_fma_f32 v[38:39], v[38:39], v[8:9], v[48:49]
	v_mov_b32_e32 v65, v25
	v_add_f32_e32 v25, v50, v68
	v_mov_b32_e32 v71, v37
	v_pk_add_f32 v[48:49], v[72:73], v[78:79]
	v_pk_fma_f32 v[42:43], v[42:43], v[16:17], v[76:77] neg_lo:[0,0,1] neg_hi:[0,0,1]
	v_pk_fma_f32 v[44:45], v[46:47], v[16:17], v[62:63]
	v_mov_b32_e32 v24, v31
	v_add_f32_e32 v36, v51, v27
	v_mul_f32_e32 v25, 0.5, v25
	v_pk_add_f32 v[46:47], v[32:33], v[70:71]
	v_pk_add_f32 v[62:63], v[70:71], v[64:65] neg_lo:[0,1] neg_hi:[0,1]
	v_pk_fma_f32 v[48:49], v[48:49], 0.5, v[32:33] op_sel_hi:[1,0,1] neg_lo:[1,0,0] neg_hi:[1,0,0]
	v_mov_b32_e32 v30, v66
	v_mov_b32_e32 v69, v27
	v_pk_add_f32 v[26:27], v[42:43], v[66:67]
	v_pk_add_f32 v[28:29], v[44:45], v[24:25]
	v_mul_f32_e32 v24, 0.5, v36
	v_pk_add_f32 v[36:37], v[70:71], v[72:73] neg_lo:[0,1] neg_hi:[0,1]
	v_pk_add_f32 v[40:41], v[72:73], v[70:71] neg_lo:[0,1] neg_hi:[0,1]
	;; [unrolled: 1-line block ×3, first 2 shown]
	v_pk_add_f32 v[46:47], v[46:47], v[72:73]
	v_pk_fma_f32 v[72:73], v[62:63], s[0:1], v[48:49] op_sel:[1,0,0] op_sel_hi:[0,0,1]
	v_pk_fma_f32 v[48:49], v[62:63], s[0:1], v[48:49] op_sel:[1,0,0] op_sel_hi:[0,0,1] neg_lo:[1,0,0] neg_hi:[1,0,0]
	v_pk_fma_f32 v[34:35], v[34:35], v[8:9], v[74:75] neg_lo:[0,0,1] neg_hi:[0,0,1]
	v_pk_add_f32 v[74:75], v[64:65], v[78:79] neg_lo:[0,1] neg_hi:[0,1]
	v_pk_add_f32 v[70:71], v[70:71], v[64:65]
	v_pk_fma_f32 v[48:49], v[66:67], s[14:15], v[48:49] op_sel:[1,0,0] op_sel_hi:[0,0,1] neg_lo:[1,0,0] neg_hi:[1,0,0]
	v_pk_fma_f32 v[72:73], v[66:67], s[14:15], v[72:73] op_sel:[1,0,0] op_sel_hi:[0,0,1]
	v_pk_add_f32 v[36:37], v[36:37], v[74:75]
	v_pk_fma_f32 v[32:33], v[70:71], 0.5, v[32:33] op_sel_hi:[1,0,1] neg_lo:[1,0,0] neg_hi:[1,0,0]
	v_mov_b32_e32 v74, v72
	v_mov_b32_e32 v75, v49
	;; [unrolled: 1-line block ×3, first 2 shown]
	v_pk_fma_f32 v[72:73], v[36:37], s[18:19], v[74:75] op_sel_hi:[1,0,1]
	v_pk_fma_f32 v[74:75], v[36:37], s[18:19], v[48:49] op_sel_hi:[1,0,1]
	v_pk_fma_f32 v[36:37], v[66:67], s[0:1], v[32:33] op_sel:[1,0,0] op_sel_hi:[0,0,1] neg_lo:[1,0,0] neg_hi:[1,0,0]
	v_pk_fma_f32 v[32:33], v[66:67], s[0:1], v[32:33] op_sel:[1,0,0] op_sel_hi:[0,0,1]
	v_pk_fma_f32 v[32:33], v[62:63], s[14:15], v[32:33] op_sel:[1,0,0] op_sel_hi:[0,0,1] neg_lo:[1,0,0] neg_hi:[1,0,0]
	v_pk_fma_f32 v[36:37], v[62:63], s[14:15], v[36:37] op_sel:[1,0,0] op_sel_hi:[0,0,1]
	v_pk_add_f32 v[62:63], v[78:79], v[64:65] neg_lo:[0,1] neg_hi:[0,1]
	v_mov_b32_e32 v29, v26
	v_mov_b32_e32 v39, v34
	;; [unrolled: 1-line block ×6, first 2 shown]
	v_pk_add_f32 v[40:41], v[40:41], v[62:63]
	v_mov_b32_e32 v33, v37
	v_pk_fma_f32 v[26:27], v[28:29], 0.5, v[38:39] op_sel_hi:[1,0,1] neg_lo:[1,0,0] neg_hi:[1,0,0]
	v_pk_add_f32 v[28:29], v[50:51], v[68:69] neg_lo:[0,1] neg_hi:[0,1]
	v_pk_add_f32 v[76:77], v[34:35], v[50:51]
	v_pk_fma_f32 v[48:49], v[40:41], s[18:19], v[48:49] op_sel_hi:[1,0,1]
	v_pk_fma_f32 v[40:41], v[40:41], s[18:19], v[32:33] op_sel_hi:[1,0,1]
	;; [unrolled: 1-line block ×3, first 2 shown]
	v_pk_add_f32 v[34:35], v[42:43], v[30:31] neg_lo:[0,1] neg_hi:[0,1]
	v_pk_add_f32 v[24:25], v[38:39], v[24:25] neg_lo:[0,1] neg_hi:[0,1]
	v_pk_fma_f32 v[26:27], v[28:29], s[0:1], v[26:27] op_sel_hi:[1,0,1] neg_lo:[1,0,0] neg_hi:[1,0,0]
	v_mov_b32_e32 v38, v51
	v_mov_b32_e32 v39, v50
	;; [unrolled: 1-line block ×3, first 2 shown]
	v_pk_add_f32 v[70:71], v[76:77], v[42:43]
	v_pk_fma_f32 v[26:27], v[34:35], s[14:15], v[26:27] op_sel_hi:[1,0,1] neg_lo:[1,0,0] neg_hi:[1,0,0]
	v_pk_add_f32 v[42:43], v[38:39], v[44:45] neg_lo:[0,1] neg_hi:[0,1]
	v_pk_add_f32 v[50:51], v[68:69], v[30:31] neg_lo:[0,1] neg_hi:[0,1]
	v_pk_fma_f32 v[32:33], v[34:35], s[14:15], v[32:33] op_sel_hi:[1,0,1]
	v_pk_fma_f32 v[36:37], v[34:35], s[0:1], v[24:25] op_sel_hi:[1,0,1] neg_lo:[1,0,0] neg_hi:[1,0,0]
	v_pk_add_f32 v[42:43], v[42:43], v[50:51] op_sel:[0,1] op_sel_hi:[1,0]
	v_mov_b32_e32 v51, v33
	v_mov_b32_e32 v33, v27
	v_pk_fma_f32 v[24:25], v[34:35], s[0:1], v[24:25] op_sel_hi:[1,0,1]
	v_pk_add_f32 v[70:71], v[70:71], v[30:31]
	v_mov_b32_e32 v50, v26
	v_pk_fma_f32 v[26:27], v[42:43], s[18:19], v[32:33] op_sel_hi:[1,0,1]
	v_pk_fma_f32 v[32:33], v[28:29], s[14:15], v[36:37] op_sel_hi:[1,0,1]
	v_pk_fma_f32 v[24:25], v[28:29], s[14:15], v[24:25] op_sel_hi:[1,0,1] neg_lo:[1,0,0] neg_hi:[1,0,0]
	v_pk_add_f32 v[34:35], v[44:45], v[38:39] neg_lo:[0,1] neg_hi:[0,1]
	v_pk_add_f32 v[30:31], v[30:31], v[68:69] neg_lo:[0,1] neg_hi:[0,1]
	v_pk_fma_f32 v[50:51], v[42:43], s[18:19], v[50:51] op_sel_hi:[1,0,1]
	v_mov_b32_e32 v28, v24
	v_mov_b32_e32 v29, v33
	v_pk_add_f32 v[30:31], v[34:35], v[30:31] op_sel:[0,1] op_sel_hi:[1,0]
	v_mov_b32_e32 v33, v25
	v_pk_fma_f32 v[28:29], v[30:31], s[18:19], v[28:29] op_sel_hi:[1,0,1]
	v_pk_fma_f32 v[24:25], v[30:31], s[18:19], v[32:33] op_sel_hi:[1,0,1]
	v_pk_mul_f32 v[30:31], v[50:51], s[14:15] op_sel_hi:[1,0]
	v_pk_add_f32 v[46:47], v[46:47], v[78:79]
	v_pk_fma_f32 v[32:33], v[50:51], s[20:21], v[30:31] op_sel:[0,0,1] op_sel_hi:[1,0,0]
	v_pk_fma_f32 v[30:31], v[50:51], s[20:21], v[30:31] op_sel:[0,0,1] op_sel_hi:[1,0,0] neg_lo:[0,0,1] neg_hi:[0,0,1]
	v_mov_b32_e32 v42, v33
	v_mov_b32_e32 v43, v30
	v_pk_mul_f32 v[30:31], v[28:29], s[0:1] op_sel_hi:[1,0]
	v_pk_add_f32 v[46:47], v[46:47], v[64:65]
	v_pk_fma_f32 v[32:33], v[28:29], s[18:19], v[30:31] op_sel:[0,0,1] op_sel_hi:[1,0,0]
	v_pk_fma_f32 v[28:29], v[28:29], s[18:19], v[30:31] op_sel:[0,0,1] op_sel_hi:[1,0,0] neg_lo:[0,0,1] neg_hi:[0,0,1]
	v_pk_add_f32 v[70:71], v[70:71], v[68:69]
	v_mov_b32_e32 v31, v28
	v_pk_mul_f32 v[28:29], v[24:25], s[18:19] op_sel_hi:[1,0]
	v_mov_b32_e32 v30, v33
	v_pk_fma_f32 v[28:29], v[24:25], s[0:1], v[28:29] op_sel:[0,0,1] op_sel_hi:[1,1,0] neg_lo:[0,0,1] neg_hi:[0,0,1]
	v_pk_mul_f32 v[24:25], v[26:27], s[20:21] op_sel_hi:[1,0]
	v_pk_add_f32 v[32:33], v[48:49], v[30:31]
	v_pk_fma_f32 v[50:51], v[26:27], s[14:15], v[24:25] op_sel:[0,0,1] op_sel_hi:[1,1,0] neg_lo:[0,0,1] neg_hi:[0,0,1]
	v_pk_add_f32 v[24:25], v[46:47], v[70:71]
	v_pk_add_f32 v[26:27], v[72:73], v[42:43]
	;; [unrolled: 1-line block ×4, first 2 shown]
	v_pk_add_f32 v[38:39], v[46:47], v[70:71] neg_lo:[0,1] neg_hi:[0,1]
	v_pk_add_f32 v[44:45], v[72:73], v[42:43] neg_lo:[0,1] neg_hi:[0,1]
	;; [unrolled: 1-line block ×5, first 2 shown]
	s_and_saveexec_b64 s[0:1], s[2:3]
	s_cbranch_execz .LBB0_11
; %bb.10:
	v_add_u32_e32 v28, 0x800, v52
	ds_write2_b64 v52, v[24:25], v[26:27] offset1:66
	ds_write2_b64 v52, v[32:33], v[34:35] offset0:132 offset1:198
	ds_write2_b64 v28, v[36:37], v[38:39] offset0:8 offset1:74
	;; [unrolled: 1-line block ×3, first 2 shown]
	v_add_u32_e32 v28, 0x1000, v52
	ds_write2_b64 v28, v[48:49], v[50:51] offset0:16 offset1:82
.LBB0_11:
	s_or_b64 exec, exec, s[0:1]
	s_waitcnt lgkmcnt(0)
	s_barrier
	s_and_saveexec_b64 s[0:1], s[6:7]
	s_cbranch_execz .LBB0_13
; %bb.12:
	v_mov_b32_e32 v53, 0
	v_lshl_add_u64 v[28:29], s[12:13], 0, v[52:53]
	v_add_co_u32_e32 v30, vcc, 0x1000, v28
	s_mov_b64 s[14:15], 0x14a0
	s_nop 0
	v_addc_co_u32_e32 v31, vcc, 0, v29, vcc
	global_load_dwordx2 v[30:31], v[30:31], off offset:1184
	v_lshl_add_u64 v[40:41], v[28:29], 0, s[14:15]
	s_movk_i32 s14, 0x2000
	v_add_co_u32_e32 v28, vcc, s14, v28
	global_load_dwordx2 v[74:75], v[40:41], off offset:480
	global_load_dwordx2 v[76:77], v[40:41], off offset:960
	;; [unrolled: 1-line block ×3, first 2 shown]
	v_addc_co_u32_e32 v29, vcc, 0, v29, vcc
	global_load_dwordx2 v[80:81], v[40:41], off offset:1920
	global_load_dwordx2 v[82:83], v[40:41], off offset:2400
	;; [unrolled: 1-line block ×7, first 2 shown]
	ds_read_b64 v[28:29], v52
	v_add_u32_e32 v53, 0x800, v52
	v_add_u32_e32 v96, 0x1000, v52
	s_waitcnt vmcnt(10) lgkmcnt(0)
	v_mul_f32_e32 v40, v29, v31
	v_mul_f32_e32 v41, v28, v31
	v_fma_f32 v40, v28, v30, -v40
	v_fmac_f32_e32 v41, v29, v30
	ds_write_b64 v52, v[40:41]
	ds_read2_b64 v[28:31], v52 offset0:60 offset1:120
	ds_read2_b64 v[40:43], v52 offset0:180 offset1:240
	;; [unrolled: 1-line block ×5, first 2 shown]
	s_waitcnt vmcnt(9) lgkmcnt(4)
	v_mul_f32_e32 v94, v29, v75
	v_mul_f32_e32 v95, v28, v75
	s_waitcnt vmcnt(8)
	v_mul_f32_e32 v97, v31, v77
	v_mul_f32_e32 v75, v30, v77
	s_waitcnt vmcnt(7) lgkmcnt(3)
	v_mul_f32_e32 v98, v41, v79
	v_mul_f32_e32 v77, v40, v79
	s_waitcnt vmcnt(6)
	v_mul_f32_e32 v99, v43, v81
	v_mul_f32_e32 v79, v42, v81
	;; [unrolled: 6-line block ×5, first 2 shown]
	v_fma_f32 v94, v28, v74, -v94
	v_fmac_f32_e32 v95, v29, v74
	v_fma_f32 v74, v30, v76, -v97
	v_fmac_f32_e32 v75, v31, v76
	;; [unrolled: 2-line block ×10, first 2 shown]
	ds_write2_b64 v52, v[94:95], v[74:75] offset0:60 offset1:120
	ds_write2_b64 v52, v[76:77], v[78:79] offset0:180 offset1:240
	;; [unrolled: 1-line block ×5, first 2 shown]
.LBB0_13:
	s_or_b64 exec, exec, s[0:1]
	s_waitcnt lgkmcnt(0)
	s_barrier
	s_and_saveexec_b64 s[0:1], s[6:7]
	s_cbranch_execz .LBB0_15
; %bb.14:
	v_add_u32_e32 v28, 0x400, v52
	ds_read2_b64 v[24:27], v52 offset1:60
	ds_read2_b64 v[32:35], v52 offset0:120 offset1:180
	ds_read2_b64 v[36:39], v28 offset0:112 offset1:172
	v_add_u32_e32 v28, 0x800, v52
	ds_read2_b64 v[44:47], v28 offset0:104 offset1:164
	v_add_u32_e32 v28, 0xc00, v52
	ds_read2_b64 v[48:51], v28 offset0:96 offset1:156
	ds_read_b64 v[58:59], v52 offset:4800
.LBB0_15:
	s_or_b64 exec, exec, s[0:1]
	s_waitcnt lgkmcnt(0)
	v_pk_add_f32 v[28:29], v[26:27], v[58:59] neg_lo:[0,1] neg_hi:[0,1]
	v_pk_add_f32 v[88:89], v[26:27], v[58:59]
	v_mov_b32_e32 v63, v28
	v_mov_b32_e32 v62, v88
	;; [unrolled: 1-line block ×3, first 2 shown]
	v_pk_add_f32 v[28:29], v[32:33], v[50:51] neg_lo:[0,1] neg_hi:[0,1]
	v_pk_add_f32 v[86:87], v[32:33], v[50:51]
	v_mov_b32_e32 v65, v28
	v_mov_b32_e32 v64, v86
	;; [unrolled: 1-line block ×3, first 2 shown]
	v_pk_add_f32 v[28:29], v[34:35], v[48:49] neg_lo:[0,1] neg_hi:[0,1]
	v_pk_add_f32 v[84:85], v[34:35], v[48:49]
	s_mov_b32 s24, 0xbf68dda4
	v_mov_b32_e32 v66, v84
	v_mov_b32_e32 v67, v28
	;; [unrolled: 1-line block ×3, first 2 shown]
	v_pk_add_f32 v[28:29], v[36:37], v[46:47] neg_lo:[0,1] neg_hi:[0,1]
	v_pk_add_f32 v[82:83], v[36:37], v[46:47]
	s_mov_b32 s25, 0x3ed4b147
	s_mov_b32 s26, 0xbf4178ce
	v_mov_b32_e32 v68, v82
	v_mov_b32_e32 v69, v28
	v_mov_b32_e32 v82, v29
	v_pk_add_f32 v[28:29], v[38:39], v[44:45] neg_lo:[0,1] neg_hi:[0,1]
	v_pk_add_f32 v[80:81], v[38:39], v[44:45]
	v_pk_mul_f32 v[74:75], v[88:89], s[24:25]
	s_mov_b32 s0, s25
	s_mov_b32 s1, s24
	;; [unrolled: 1-line block ×3, first 2 shown]
	v_mov_b32_e32 v70, v80
	v_mov_b32_e32 v71, v28
	v_mov_b32_e32 v80, v29
	v_pk_fma_f32 v[28:29], v[62:63], s[0:1], v[74:75] neg_lo:[0,0,1] neg_hi:[0,0,1]
	v_pk_fma_f32 v[72:73], v[62:63], s[0:1], v[74:75]
	v_pk_mul_f32 v[78:79], v[86:87], s[26:27]
	s_mov_b32 s14, s27
	s_mov_b32 s15, s26
	v_mov_b32_e32 v29, v73
	v_pk_fma_f32 v[30:31], v[64:65], s[14:15], v[78:79] neg_lo:[0,0,1] neg_hi:[0,0,1]
	v_pk_fma_f32 v[76:77], v[64:65], s[14:15], v[78:79]
	s_mov_b32 s29, 0xbf75a155
	s_mov_b32 s28, 0x3e903f40
	v_pk_add_f32 v[28:29], v[24:25], v[28:29]
	v_mov_b32_e32 v31, v77
	v_pk_mul_f32 v[90:91], v[84:85], s[28:29]
	s_mov_b32 s40, s29
	s_mov_b32 s41, s28
	s_mov_b32 s22, 0x3f7d64f0
	v_pk_add_f32 v[28:29], v[30:31], v[28:29]
	v_pk_fma_f32 v[30:31], v[66:67], s[40:41], v[90:91] neg_lo:[0,0,1] neg_hi:[0,0,1]
	v_pk_fma_f32 v[94:95], v[66:67], s[40:41], v[90:91]
	s_mov_b32 s23, 0xbe11bafb
	v_mov_b32_e32 v31, v95
	v_pk_mul_f32 v[104:105], v[82:83], s[22:23]
	s_mov_b32 s42, s23
	s_mov_b32 s43, s22
	;; [unrolled: 1-line block ×3, first 2 shown]
	v_pk_add_f32 v[28:29], v[30:31], v[28:29]
	v_pk_fma_f32 v[30:31], v[68:69], s[42:43], v[104:105] neg_lo:[0,0,1] neg_hi:[0,0,1]
	v_pk_fma_f32 v[106:107], v[68:69], s[42:43], v[104:105]
	s_mov_b32 s31, 0x3f575c64
	v_mov_b32_e32 v31, v107
	v_pk_mul_f32 v[108:109], v[80:81], s[30:31]
	s_mov_b32 s34, s31
	s_mov_b32 s35, s30
	v_pk_add_f32 v[28:29], v[30:31], v[28:29]
	v_pk_fma_f32 v[30:31], v[70:71], s[34:35], v[108:109] neg_lo:[0,0,1] neg_hi:[0,0,1]
	v_pk_fma_f32 v[110:111], v[70:71], s[34:35], v[108:109]
	s_mov_b32 s38, 0xbf7d64f0
	s_mov_b32 s39, s23
	v_mov_b32_e32 v31, v111
	v_pk_mul_f32 v[112:113], v[88:89], s[38:39]
	s_mov_b32 s18, s23
	s_mov_b32 s19, s38
	v_pk_add_f32 v[30:31], v[30:31], v[28:29]
	v_pk_fma_f32 v[28:29], v[62:63], s[18:19], v[112:113] neg_lo:[0,0,1] neg_hi:[0,0,1]
	v_pk_fma_f32 v[114:115], v[62:63], s[18:19], v[112:113]
	v_pk_mul_f32 v[118:119], v[86:87], s[28:29]
	v_mov_b32_e32 v29, v115
	v_pk_fma_f32 v[40:41], v[64:65], s[40:41], v[118:119] neg_lo:[0,0,1] neg_hi:[0,0,1]
	v_pk_fma_f32 v[116:117], v[64:65], s[40:41], v[118:119]
	s_mov_b32 s46, 0x3f68dda4
	s_mov_b32 s47, s25
	v_pk_add_f32 v[28:29], v[24:25], v[28:29]
	v_mov_b32_e32 v41, v117
	v_pk_mul_f32 v[120:121], v[84:85], s[46:47]
	s_mov_b32 s36, s25
	s_mov_b32 s37, s46
	v_pk_add_f32 v[28:29], v[40:41], v[28:29]
	v_pk_fma_f32 v[40:41], v[66:67], s[36:37], v[120:121] neg_lo:[0,0,1] neg_hi:[0,0,1]
	v_pk_fma_f32 v[122:123], v[66:67], s[36:37], v[120:121]
	s_mov_b32 s44, 0xbf0a6770
	s_mov_b32 s45, s31
	v_mov_b32_e32 v41, v123
	v_pk_mul_f32 v[128:129], v[82:83], s[44:45]
	s_mov_b32 s20, s31
	s_mov_b32 s21, s44
	v_pk_add_f32 v[28:29], v[40:41], v[28:29]
	v_pk_fma_f32 v[40:41], v[68:69], s[20:21], v[128:129] neg_lo:[0,0,1] neg_hi:[0,0,1]
	v_pk_fma_f32 v[134:135], v[68:69], s[20:21], v[128:129]
	v_pk_mul_f32 v[142:143], v[80:81], s[26:27]
	v_mov_b32_e32 v41, v135
	v_pk_add_f32 v[28:29], v[40:41], v[28:29]
	v_pk_fma_f32 v[40:41], v[70:71], s[14:15], v[142:143] neg_lo:[0,0,1] neg_hi:[0,0,1]
	v_pk_fma_f32 v[140:141], v[70:71], s[14:15], v[142:143]
	v_pk_mul_f32 v[126:127], v[88:89], s[26:27]
	v_mov_b32_e32 v41, v141
	v_pk_add_f32 v[28:29], v[40:41], v[28:29]
	v_pk_fma_f32 v[40:41], v[62:63], s[14:15], v[126:127] neg_lo:[0,0,1] neg_hi:[0,0,1]
	v_pk_fma_f32 v[124:125], v[62:63], s[14:15], v[126:127]
	v_pk_mul_f32 v[132:133], v[86:87], s[22:23]
	v_mov_b32_e32 v41, v125
	v_pk_fma_f32 v[42:43], v[64:65], s[42:43], v[132:133] neg_lo:[0,0,1] neg_hi:[0,0,1]
	v_pk_fma_f32 v[130:131], v[64:65], s[42:43], v[132:133]
	v_pk_add_f32 v[40:41], v[24:25], v[40:41]
	v_mov_b32_e32 v43, v131
	v_pk_mul_f32 v[138:139], v[84:85], s[44:45]
	v_pk_add_f32 v[40:41], v[42:43], v[40:41]
	v_pk_fma_f32 v[42:43], v[66:67], s[20:21], v[138:139] neg_lo:[0,0,1] neg_hi:[0,0,1]
	v_pk_fma_f32 v[136:137], v[66:67], s[20:21], v[138:139]
	s_mov_b32 s28, 0xbe903f40
	v_mov_b32_e32 v43, v137
	v_pk_mul_f32 v[144:145], v[82:83], s[28:29]
	s_mov_b32 s22, s29
	s_mov_b32 s23, s28
	v_pk_add_f32 v[40:41], v[42:43], v[40:41]
	v_pk_fma_f32 v[42:43], v[68:69], s[22:23], v[144:145] neg_lo:[0,0,1] neg_hi:[0,0,1]
	v_pk_fma_f32 v[146:147], v[68:69], s[22:23], v[144:145]
	v_pk_mul_f32 v[150:151], v[88:89], s[28:29]
	v_mov_b32_e32 v43, v147
	v_pk_add_f32 v[40:41], v[42:43], v[40:41]
	v_pk_fma_f32 v[42:43], v[62:63], s[22:23], v[150:151] neg_lo:[0,0,1] neg_hi:[0,0,1]
	v_pk_fma_f32 v[148:149], v[62:63], s[22:23], v[150:151]
	v_pk_mul_f32 v[154:155], v[86:87], s[30:31]
	v_mov_b32_e32 v43, v149
	v_pk_fma_f32 v[92:93], v[64:65], s[34:35], v[154:155] neg_lo:[0,0,1] neg_hi:[0,0,1]
	v_pk_fma_f32 v[152:153], v[64:65], s[34:35], v[154:155]
	v_pk_add_f32 v[42:43], v[24:25], v[42:43]
	v_mov_b32_e32 v93, v153
	v_pk_mul_f32 v[158:159], v[84:85], s[26:27]
	v_pk_add_f32 v[42:43], v[92:93], v[42:43]
	v_pk_fma_f32 v[92:93], v[66:67], s[14:15], v[158:159] neg_lo:[0,0,1] neg_hi:[0,0,1]
	v_pk_fma_f32 v[156:157], v[66:67], s[14:15], v[158:159]
	v_pk_mul_f32 v[162:163], v[82:83], s[46:47]
	v_mov_b32_e32 v93, v157
	v_pk_add_f32 v[42:43], v[92:93], v[42:43]
	v_pk_fma_f32 v[92:93], v[68:69], s[36:37], v[162:163] neg_lo:[0,0,1] neg_hi:[0,0,1]
	v_pk_fma_f32 v[160:161], v[68:69], s[36:37], v[162:163]
	v_pk_mul_f32 v[170:171], v[80:81], s[46:47]
	v_mov_b32_e32 v93, v161
	;; [unrolled: 5-line block ×3, first 2 shown]
	v_pk_add_f32 v[42:43], v[42:43], v[40:41]
	v_pk_fma_f32 v[40:41], v[70:71], s[18:19], v[166:167] neg_lo:[0,0,1] neg_hi:[0,0,1]
	v_pk_fma_f32 v[164:165], v[70:71], s[18:19], v[166:167]
	v_mov_b32_e32 v102, v4
	v_mov_b32_e32 v41, v165
	v_pk_add_f32 v[40:41], v[40:41], v[92:93]
	v_mov_b32_e32 v103, v4
	v_mov_b32_e32 v4, v5
	;; [unrolled: 1-line block ×14, first 2 shown]
	s_barrier
	s_and_saveexec_b64 s[30:31], s[6:7]
	s_cbranch_execz .LBB0_17
; %bb.16:
	v_pk_add_f32 v[26:27], v[26:27], v[24:25]
	v_pk_mul_f32 v[174:175], v[62:63], s[0:1]
	v_pk_add_f32 v[26:27], v[32:33], v[26:27]
	v_pk_mul_f32 v[176:177], v[64:65], s[14:15]
	v_pk_add_f32 v[26:27], v[34:35], v[26:27]
	v_pk_add_f32 v[74:75], v[74:75], v[174:175] neg_lo:[0,1] neg_hi:[0,1]
	v_pk_add_f32 v[26:27], v[36:37], v[26:27]
	v_pk_mul_f32 v[36:37], v[88:89], s[44:45]
	v_pk_add_f32 v[26:27], v[38:39], v[26:27]
	v_pk_fma_f32 v[38:39], v[62:63], s[20:21], v[36:37]
	v_pk_add_f32 v[26:27], v[44:45], v[26:27]
	v_pk_fma_f32 v[44:45], v[62:63], s[20:21], v[36:37] neg_lo:[1,0,0] neg_hi:[1,0,0]
	v_pk_add_f32 v[26:27], v[46:47], v[26:27]
	v_pk_mul_f32 v[46:47], v[86:87], s[24:25]
	v_pk_add_f32 v[26:27], v[48:49], v[26:27]
	v_mov_b32_e32 v73, v75
	v_pk_add_f32 v[78:79], v[78:79], v[176:177] neg_lo:[0,1] neg_hi:[0,1]
	v_pk_mul_f32 v[178:179], v[66:67], s[40:41]
	v_pk_add_f32 v[26:27], v[50:51], v[26:27]
	v_mov_b32_e32 v44, v38
	v_pk_fma_f32 v[48:49], v[64:65], s[0:1], v[46:47]
	v_pk_fma_f32 v[50:51], v[64:65], s[0:1], v[46:47] neg_lo:[1,0,0] neg_hi:[1,0,0]
	v_pk_add_f32 v[72:73], v[24:25], v[72:73]
	v_mov_b32_e32 v77, v79
	v_pk_mul_f32 v[180:181], v[68:69], s[42:43]
	v_pk_add_f32 v[44:45], v[24:25], v[44:45]
	v_mov_b32_e32 v50, v48
	v_pk_add_f32 v[72:73], v[76:77], v[72:73]
	v_pk_add_f32 v[76:77], v[90:91], v[178:179] neg_lo:[0,1] neg_hi:[0,1]
	v_pk_mul_f32 v[182:183], v[70:71], s[34:35]
	v_pk_add_f32 v[44:45], v[50:51], v[44:45]
	v_pk_mul_f32 v[50:51], v[84:85], s[38:39]
	v_mov_b32_e32 v95, v77
	v_pk_add_f32 v[76:77], v[104:105], v[180:181] neg_lo:[0,1] neg_hi:[0,1]
	v_pk_mul_f32 v[184:185], v[62:63], s[18:19]
	v_pk_add_f32 v[26:27], v[58:59], v[26:27]
	v_pk_fma_f32 v[58:59], v[66:67], s[18:19], v[50:51]
	v_pk_fma_f32 v[84:85], v[66:67], s[18:19], v[50:51] neg_lo:[1,0,0] neg_hi:[1,0,0]
	v_mov_b32_e32 v107, v77
	v_pk_add_f32 v[76:77], v[108:109], v[182:183] neg_lo:[0,1] neg_hi:[0,1]
	v_pk_mul_f32 v[186:187], v[64:65], s[40:41]
	v_mov_b32_e32 v84, v58
	v_pk_mul_f32 v[82:83], v[82:83], s[26:27]
	v_mov_b32_e32 v111, v77
	v_pk_add_f32 v[76:77], v[112:113], v[184:185] neg_lo:[0,1] neg_hi:[0,1]
	v_pk_mul_f32 v[188:189], v[66:67], s[36:37]
	v_pk_add_f32 v[44:45], v[84:85], v[44:45]
	v_pk_fma_f32 v[84:85], v[68:69], s[14:15], v[82:83]
	v_pk_fma_f32 v[86:87], v[68:69], s[14:15], v[82:83] neg_lo:[1,0,0] neg_hi:[1,0,0]
	v_mov_b32_e32 v115, v77
	v_pk_add_f32 v[78:79], v[118:119], v[186:187] neg_lo:[0,1] neg_hi:[0,1]
	v_pk_mul_f32 v[190:191], v[68:69], s[20:21]
	v_mov_b32_e32 v86, v84
	v_pk_mul_f32 v[80:81], v[80:81], s[28:29]
	v_pk_add_f32 v[76:77], v[24:25], v[114:115]
	v_mov_b32_e32 v117, v79
	v_pk_add_f32 v[78:79], v[120:121], v[188:189] neg_lo:[0,1] neg_hi:[0,1]
	v_pk_mul_f32 v[192:193], v[70:71], s[14:15]
	v_pk_add_f32 v[44:45], v[86:87], v[44:45]
	v_pk_fma_f32 v[86:87], v[70:71], s[22:23], v[80:81]
	v_pk_fma_f32 v[88:89], v[70:71], s[22:23], v[80:81] neg_lo:[1,0,0] neg_hi:[1,0,0]
	v_pk_add_f32 v[76:77], v[116:117], v[76:77]
	v_mov_b32_e32 v123, v79
	v_pk_add_f32 v[78:79], v[128:129], v[190:191] neg_lo:[0,1] neg_hi:[0,1]
	v_mov_b32_e32 v88, v86
	v_pk_add_f32 v[72:73], v[94:95], v[72:73]
	v_pk_add_f32 v[76:77], v[122:123], v[76:77]
	v_mov_b32_e32 v135, v79
	v_pk_add_f32 v[78:79], v[142:143], v[192:193] neg_lo:[0,1] neg_hi:[0,1]
	v_pk_mul_f32 v[34:35], v[68:69], s[22:23]
	v_pk_add_f32 v[44:45], v[88:89], v[44:45]
	v_lshlrev_b32_e32 v38, 3, v172
	v_pk_add_f32 v[72:73], v[106:107], v[72:73]
	v_pk_add_f32 v[76:77], v[134:135], v[76:77]
	v_mov_b32_e32 v141, v79
	v_pk_mul_f32 v[194:195], v[62:63], s[14:15]
	v_pk_mul_f32 v[88:89], v[70:71], s[36:37]
	ds_write2_b64 v38, v[26:27], v[44:45] offset1:1
	v_pk_mul_f32 v[26:27], v[62:63], s[22:23]
	v_pk_add_f32 v[72:73], v[110:111], v[72:73]
	v_pk_add_f32 v[76:77], v[140:141], v[76:77]
	v_pk_add_f32 v[34:35], v[144:145], v[34:35] neg_lo:[0,1] neg_hi:[0,1]
	v_pk_mul_f32 v[196:197], v[64:65], s[42:43]
	v_pk_mul_f32 v[44:45], v[64:65], s[34:35]
	ds_write2_b64 v38, v[72:73], v[76:77] offset0:2 offset1:3
	v_pk_add_f32 v[72:73], v[126:127], v[194:195] neg_lo:[0,1] neg_hi:[0,1]
	v_mov_b32_e32 v147, v35
	v_pk_add_f32 v[34:35], v[170:171], v[88:89] neg_lo:[0,1] neg_hi:[0,1]
	v_pk_add_f32 v[26:27], v[150:151], v[26:27] neg_lo:[0,1] neg_hi:[0,1]
	v_pk_mul_f32 v[32:33], v[66:67], s[20:21]
	v_pk_mul_f32 v[174:175], v[66:67], s[14:15]
	v_mov_b32_e32 v125, v73
	v_pk_add_f32 v[76:77], v[132:133], v[196:197] neg_lo:[0,1] neg_hi:[0,1]
	v_mov_b32_e32 v169, v35
	v_mov_b32_e32 v149, v27
	v_pk_add_f32 v[34:35], v[154:155], v[44:45] neg_lo:[0,1] neg_hi:[0,1]
	v_pk_mul_f32 v[74:75], v[68:69], s[36:37]
	v_pk_add_f32 v[72:73], v[24:25], v[124:125]
	v_mov_b32_e32 v131, v77
	v_pk_add_f32 v[32:33], v[138:139], v[32:33] neg_lo:[0,1] neg_hi:[0,1]
	v_pk_add_f32 v[26:27], v[24:25], v[148:149]
	v_mov_b32_e32 v153, v35
	v_pk_add_f32 v[34:35], v[158:159], v[174:175] neg_lo:[0,1] neg_hi:[0,1]
	v_pk_mul_f32 v[176:177], v[70:71], s[18:19]
	v_pk_add_f32 v[72:73], v[130:131], v[72:73]
	v_mov_b32_e32 v137, v33
	v_pk_add_f32 v[26:27], v[152:153], v[26:27]
	v_mov_b32_e32 v157, v35
	v_pk_add_f32 v[34:35], v[162:163], v[74:75] neg_lo:[0,1] neg_hi:[0,1]
	v_pk_add_f32 v[32:33], v[136:137], v[72:73]
	v_pk_add_f32 v[26:27], v[156:157], v[26:27]
	v_mov_b32_e32 v161, v35
	v_pk_add_f32 v[34:35], v[166:167], v[176:177] neg_lo:[0,1] neg_hi:[0,1]
	v_pk_add_f32 v[32:33], v[146:147], v[32:33]
	v_pk_add_f32 v[26:27], v[160:161], v[26:27]
	v_mov_b32_e32 v165, v35
	v_pk_add_f32 v[32:33], v[168:169], v[32:33]
	v_pk_add_f32 v[26:27], v[164:165], v[26:27]
	ds_write2_b64 v38, v[32:33], v[26:27] offset0:4 offset1:5
	ds_write2_b64 v38, v[40:41], v[42:43] offset0:6 offset1:7
	;; [unrolled: 1-line block ×3, first 2 shown]
	v_pk_fma_f32 v[26:27], v[62:63], s[20:21], v[36:37] neg_lo:[0,0,1] neg_hi:[0,0,1]
	s_nop 0
	v_mov_b32_e32 v27, v39
	v_pk_add_f32 v[24:25], v[24:25], v[26:27]
	v_pk_fma_f32 v[26:27], v[64:65], s[0:1], v[46:47] neg_lo:[0,0,1] neg_hi:[0,0,1]
	s_nop 0
	v_mov_b32_e32 v27, v49
	v_pk_add_f32 v[24:25], v[26:27], v[24:25]
	;; [unrolled: 4-line block ×5, first 2 shown]
	ds_write_b64 v38, v[24:25] offset:80
.LBB0_17:
	s_or_b64 exec, exec, s[30:31]
	v_add_u32_e32 v32, 0x400, v52
	s_waitcnt lgkmcnt(0)
	s_barrier
	ds_read2_b64 v[24:27], v52 offset1:110
	ds_read2_b64 v[32:35], v32 offset0:92 offset1:202
	v_add_u32_e32 v36, 0xc00, v52
	ds_read2_b64 v[36:39], v36 offset0:56 offset1:166
	s_mov_b32 s14, 0x3f5db3d7
	s_waitcnt lgkmcnt(2)
	v_pk_mul_f32 v[4:5], v[4:5], v[26:27]
	s_waitcnt lgkmcnt(1)
	v_pk_mul_f32 v[6:7], v[6:7], v[32:33]
	v_pk_fma_f32 v[44:45], v[102:103], v[26:27], v[4:5] op_sel:[0,0,1] op_sel_hi:[1,1,0]
	v_pk_fma_f32 v[4:5], v[102:103], v[26:27], v[4:5] op_sel:[0,0,1] op_sel_hi:[1,1,0] neg_lo:[0,0,1] neg_hi:[0,0,1]
	v_pk_fma_f32 v[26:27], v[100:101], v[32:33], v[6:7] op_sel:[0,0,1] op_sel_hi:[1,1,0]
	v_pk_fma_f32 v[6:7], v[100:101], v[32:33], v[6:7] op_sel:[0,0,1] op_sel_hi:[1,1,0] neg_lo:[0,0,1] neg_hi:[0,0,1]
	v_pk_mul_f32 v[0:1], v[0:1], v[34:35]
	v_mov_b32_e32 v27, v7
	v_pk_fma_f32 v[6:7], v[98:99], v[34:35], v[0:1] op_sel:[0,0,1] op_sel_hi:[1,1,0]
	v_pk_fma_f32 v[0:1], v[98:99], v[34:35], v[0:1] op_sel:[0,0,1] op_sel_hi:[1,1,0] neg_lo:[0,0,1] neg_hi:[0,0,1]
	v_mov_b32_e32 v45, v5
	v_mov_b32_e32 v7, v1
	s_waitcnt lgkmcnt(0)
	v_pk_mul_f32 v[0:1], v[2:3], v[36:37]
	v_mov_b32_e32 v4, v44
	v_pk_fma_f32 v[2:3], v[96:97], v[36:37], v[0:1] op_sel:[0,0,1] op_sel_hi:[1,1,0]
	v_pk_fma_f32 v[0:1], v[96:97], v[36:37], v[0:1] op_sel:[0,0,1] op_sel_hi:[1,1,0] neg_lo:[0,0,1] neg_hi:[0,0,1]
	s_mov_b32 s0, 0xbf5db3d7
	v_mov_b32_e32 v3, v1
	v_pk_mul_f32 v[0:1], v[56:57], v[38:39]
	s_mov_b32 s1, -0.5
	v_pk_fma_f32 v[32:33], v[92:93], v[38:39], v[0:1] op_sel:[0,0,1] op_sel_hi:[1,1,0]
	v_pk_fma_f32 v[0:1], v[92:93], v[38:39], v[0:1] op_sel:[0,0,1] op_sel_hi:[1,1,0] neg_lo:[0,0,1] neg_hi:[0,0,1]
	s_mov_b32 s18, 0.5
	v_mov_b32_e32 v33, v1
	v_pk_add_f32 v[0:1], v[24:25], v[26:27]
	v_pk_add_f32 v[36:37], v[6:7], v[32:33] neg_lo:[0,1] neg_hi:[0,1]
	v_pk_add_f32 v[34:35], v[0:1], v[2:3]
	v_pk_add_f32 v[0:1], v[6:7], v[32:33]
	v_mul_f32_e32 v38, 0x3f5db3d7, v37
	v_fmac_f32_e32 v4, -0.5, v0
	v_pk_add_f32 v[6:7], v[44:45], v[6:7]
	v_fmac_f32_e32 v5, -0.5, v1
	v_pk_add_f32 v[6:7], v[6:7], v[32:33]
	v_mul_f32_e32 v32, 0x3f5db3d7, v36
	v_pk_add_f32 v[36:37], v[26:27], v[2:3]
	v_pk_add_f32 v[2:3], v[26:27], v[2:3] neg_lo:[0,1] neg_hi:[0,1]
	v_pk_add_f32 v[44:45], v[4:5], v[38:39] op_sel_hi:[0,0]
	v_pk_add_f32 v[38:39], v[4:5], v[38:39] op_sel_hi:[0,0] neg_lo:[0,1] neg_hi:[0,1]
	v_mov_b32_e32 v4, v5
	v_pk_fma_f32 v[24:25], -0.5, v[36:37], v[24:25] op_sel_hi:[0,1,1]
	v_pk_mul_f32 v[2:3], v[2:3], s[14:15] op_sel_hi:[1,0]
	v_pk_add_f32 v[46:47], v[4:5], v[32:33] op_sel_hi:[0,0] neg_lo:[0,1] neg_hi:[0,1]
	v_pk_add_f32 v[32:33], v[4:5], v[32:33] op_sel_hi:[0,0]
	v_pk_add_f32 v[26:27], v[2:3], v[24:25] op_sel:[1,0] op_sel_hi:[0,1]
	v_pk_add_f32 v[36:37], v[24:25], v[2:3] op_sel:[0,1] op_sel_hi:[1,0] neg_lo:[0,1] neg_hi:[0,1]
	v_mov_b32_e32 v33, v47
	v_mul_f32_e32 v44, 0xbf5db3d7, v47
	v_mul_f32_e32 v3, 0x3f5db3d7, v38
	v_mul_f32_e32 v47, 0.5, v32
	v_mov_b32_e32 v46, v25
	v_mov_b32_e32 v39, v45
	v_pk_add_f32 v[24:25], v[2:3], v[46:47]
	s_mov_b32 s19, s14
	v_pk_mul_f32 v[32:33], v[32:33], s[0:1]
	v_mov_b32_e32 v2, v25
	v_pk_fma_f32 v[38:39], v[38:39], s[18:19], v[32:33]
	v_pk_add_f32 v[0:1], v[34:35], v[6:7]
	v_fmac_f32_e32 v44, -0.5, v45
	v_pk_add_f32 v[2:3], v[24:25], v[2:3]
	v_pk_add_f32 v[32:33], v[36:37], v[38:39]
	v_pk_add_f32 v[6:7], v[34:35], v[6:7] neg_lo:[0,1] neg_hi:[0,1]
	v_mov_b32_e32 v34, v36
	v_mov_b32_e32 v35, v24
	;; [unrolled: 1-line block ×5, first 2 shown]
	v_add_f32_e32 v4, v26, v44
	v_pk_add_f32 v[24:25], v[34:35], v[24:25] neg_lo:[0,1] neg_hi:[0,1]
	v_pk_add_f32 v[26:27], v[26:27], v[44:45] neg_lo:[0,1] neg_hi:[0,1]
	v_mov_b32_e32 v34, v32
	v_mov_b32_e32 v35, v2
	;; [unrolled: 1-line block ×3, first 2 shown]
	s_barrier
	ds_write2_b64 v173, v[0:1], v[34:35] offset1:11
	ds_write2_b64 v173, v[4:5], v[6:7] offset0:22 offset1:33
	ds_write2_b64 v173, v[24:25], v[26:27] offset0:44 offset1:55
	s_waitcnt lgkmcnt(0)
	s_barrier
	s_and_saveexec_b64 s[0:1], s[4:5]
	s_xor_b64 s[0:1], exec, s[0:1]
	s_andn2_saveexec_b64 s[0:1], s[0:1]
	s_cbranch_execz .LBB0_19
; %bb.18:
	v_add_u32_e32 v28, 0x800, v52
	ds_read2_b64 v[0:3], v52 offset1:66
	ds_read2_b64 v[4:7], v52 offset0:132 offset1:198
	ds_read2_b64 v[24:27], v28 offset0:8 offset1:74
	;; [unrolled: 1-line block ×3, first 2 shown]
	v_add_u32_e32 v28, 0x1000, v52
	ds_read2_b64 v[28:31], v28 offset0:16 offset1:82
	s_waitcnt lgkmcnt(4)
	v_mov_b32_e32 v32, v2
	s_waitcnt lgkmcnt(3)
	v_mov_b32_e32 v33, v5
	v_mov_b32_e32 v2, v3
.LBB0_19:
	s_or_b64 exec, exec, s[0:1]
	s_and_saveexec_b64 s[0:1], s[2:3]
	s_cbranch_execz .LBB0_21
; %bb.20:
	v_pk_mul_f32 v[34:35], v[10:11], v[32:33] op_sel:[0,1]
	s_waitcnt lgkmcnt(0)
	v_pk_mul_f32 v[38:39], v[14:15], v[28:29] op_sel:[0,1]
	v_pk_fma_f32 v[58:59], v[10:11], v[4:5], v[34:35] op_sel:[0,0,1] op_sel_hi:[1,1,0]
	v_pk_fma_f32 v[4:5], v[10:11], v[4:5], v[34:35] op_sel:[0,0,1] op_sel_hi:[1,0,0] neg_lo:[1,0,0] neg_hi:[1,0,0]
	v_pk_mul_f32 v[36:37], v[22:23], v[24:25] op_sel:[0,1]
	v_mov_b32_e32 v59, v5
	v_pk_fma_f32 v[4:5], v[14:15], v[28:29], v[38:39] op_sel:[0,0,1] op_sel_hi:[1,1,0]
	v_pk_fma_f32 v[10:11], v[14:15], v[28:29], v[38:39] op_sel:[0,0,1] op_sel_hi:[1,0,0] neg_lo:[1,0,0] neg_hi:[1,0,0]
	v_pk_mul_f32 v[44:45], v[18:19], v[40:41] op_sel:[0,1]
	v_mov_b32_e32 v5, v11
	v_pk_fma_f32 v[10:11], v[22:23], v[24:25], v[36:37] op_sel:[0,0,1] op_sel_hi:[1,1,0]
	v_pk_fma_f32 v[14:15], v[22:23], v[24:25], v[36:37] op_sel:[0,0,1] op_sel_hi:[1,0,0] neg_lo:[1,0,0] neg_hi:[1,0,0]
	v_pk_add_f32 v[22:23], v[58:59], v[4:5] neg_lo:[0,1] neg_hi:[0,1]
	v_mov_b32_e32 v11, v15
	v_pk_fma_f32 v[14:15], v[18:19], v[40:41], v[44:45] op_sel:[0,0,1] op_sel_hi:[1,1,0]
	v_pk_fma_f32 v[18:19], v[18:19], v[40:41], v[44:45] op_sel:[0,0,1] op_sel_hi:[1,0,0] neg_lo:[1,0,0] neg_hi:[1,0,0]
	s_mov_b32 s4, 0x3f737871
	v_mov_b32_e32 v15, v19
	v_pk_add_f32 v[18:19], v[14:15], v[10:11]
	v_pk_add_f32 v[28:29], v[58:59], v[10:11] neg_lo:[0,1] neg_hi:[0,1]
	v_pk_fma_f32 v[18:19], v[18:19], 0.5, v[0:1] op_sel_hi:[1,0,1] neg_lo:[1,0,0] neg_hi:[1,0,0]
	v_pk_add_f32 v[34:35], v[4:5], v[14:15] neg_lo:[0,1] neg_hi:[0,1]
	v_pk_add_f32 v[38:39], v[4:5], v[58:59]
	v_pk_add_f32 v[24:25], v[10:11], v[14:15] neg_lo:[0,1] neg_hi:[0,1]
	s_mov_b32 s2, 0x3f167918
	v_pk_add_f32 v[28:29], v[34:35], v[28:29]
	v_pk_fma_f32 v[34:35], v[22:23], s[4:5], v[18:19] op_sel:[1,0,0] op_sel_hi:[0,0,1] neg_lo:[1,0,0] neg_hi:[1,0,0]
	v_pk_fma_f32 v[18:19], v[22:23], s[4:5], v[18:19] op_sel:[1,0,0] op_sel_hi:[0,0,1]
	v_pk_fma_f32 v[38:39], v[38:39], 0.5, v[0:1] op_sel_hi:[1,0,1] neg_lo:[1,0,0] neg_hi:[1,0,0]
	v_pk_add_f32 v[40:41], v[10:11], v[58:59] neg_lo:[0,1] neg_hi:[0,1]
	v_pk_add_f32 v[44:45], v[14:15], v[4:5] neg_lo:[0,1] neg_hi:[0,1]
	v_pk_fma_f32 v[18:19], v[24:25], s[2:3], v[18:19] op_sel:[1,0,0] op_sel_hi:[0,0,1]
	v_pk_fma_f32 v[34:35], v[24:25], s[2:3], v[34:35] op_sel:[1,0,0] op_sel_hi:[0,0,1] neg_lo:[1,0,0] neg_hi:[1,0,0]
	v_pk_add_f32 v[40:41], v[44:45], v[40:41]
	v_pk_fma_f32 v[44:45], v[24:25], s[4:5], v[38:39] op_sel:[1,0,0] op_sel_hi:[0,0,1]
	v_pk_fma_f32 v[24:25], v[24:25], s[4:5], v[38:39] op_sel:[1,0,0] op_sel_hi:[0,0,1] neg_lo:[1,0,0] neg_hi:[1,0,0]
	v_pk_fma_f32 v[24:25], v[22:23], s[2:3], v[24:25] op_sel:[1,0,0] op_sel_hi:[0,0,1]
	v_pk_fma_f32 v[22:23], v[22:23], s[2:3], v[44:45] op_sel:[1,0,0] op_sel_hi:[0,0,1] neg_lo:[1,0,0] neg_hi:[1,0,0]
	v_pk_mul_f32 v[46:47], v[20:21], v[6:7] op_sel:[0,1]
	v_pk_mul_f32 v[48:49], v[16:17], v[26:27] op_sel:[0,1]
	;; [unrolled: 1-line block ×4, first 2 shown]
	s_mov_b32 s14, 0x3e9e377a
	v_mov_b32_e32 v36, v34
	v_mov_b32_e32 v37, v19
	;; [unrolled: 1-line block ×5, first 2 shown]
	v_pk_fma_f32 v[36:37], v[28:29], s[14:15], v[36:37] op_sel_hi:[1,0,1]
	v_mov_b32_e32 v38, v22
	v_pk_fma_f32 v[22:23], v[40:41], s[14:15], v[24:25] op_sel_hi:[1,0,1]
	v_pk_fma_f32 v[18:19], v[28:29], s[14:15], v[18:19] op_sel_hi:[1,0,1]
	v_pk_fma_f32 v[24:25], v[20:21], v[6:7], v[46:47] op_sel:[0,0,1] op_sel_hi:[1,1,0]
	v_pk_fma_f32 v[6:7], v[20:21], v[6:7], v[46:47] op_sel:[0,0,1] op_sel_hi:[1,0,0] neg_lo:[1,0,0] neg_hi:[1,0,0]
	v_pk_fma_f32 v[20:21], v[16:17], v[26:27], v[48:49] op_sel:[0,0,1] op_sel_hi:[1,1,0]
	v_pk_fma_f32 v[16:17], v[16:17], v[26:27], v[48:49] op_sel:[0,0,1] op_sel_hi:[1,0,0] neg_lo:[1,0,0] neg_hi:[1,0,0]
	;; [unrolled: 2-line block ×3, first 2 shown]
	v_pk_fma_f32 v[30:31], v[12:13], v[42:43], v[56:57] op_sel:[0,0,1] op_sel_hi:[1,1,0]
	v_pk_fma_f32 v[38:39], v[40:41], s[14:15], v[38:39] op_sel_hi:[1,0,1]
	v_mov_b32_e32 v34, v26
	v_mov_b32_e32 v35, v24
	;; [unrolled: 1-line block ×4, first 2 shown]
	v_pk_fma_f32 v[12:13], v[12:13], v[42:43], v[56:57] op_sel:[0,0,1] op_sel_hi:[1,0,0] neg_lo:[1,0,0] neg_hi:[1,0,0]
	v_pk_add_f32 v[42:43], v[34:35], v[40:41] neg_lo:[0,1] neg_hi:[0,1]
	v_mov_b32_e32 v16, v13
	v_mov_b32_e32 v6, v43
	v_pk_add_f32 v[42:43], v[42:43], v[6:7]
	v_mov_b32_e32 v6, v29
	v_mov_b32_e32 v25, v7
	;; [unrolled: 1-line block ×3, first 2 shown]
	v_pk_add_f32 v[12:13], v[6:7], v[16:17] neg_lo:[0,1] neg_hi:[0,1]
	v_pk_add_f32 v[34:35], v[40:41], v[34:35] neg_lo:[0,1] neg_hi:[0,1]
	;; [unrolled: 1-line block ×3, first 2 shown]
	v_pk_mul_f32 v[2:3], v[8:9], v[2:3] op_sel_hi:[1,0]
	v_mov_b32_e32 v21, v17
	v_mov_b32_e32 v27, v29
	;; [unrolled: 1-line block ×4, first 2 shown]
	v_pk_add_f32 v[44:45], v[30:31], v[20:21]
	v_pk_fma_f32 v[46:47], v[8:9], v[32:33], v[2:3] op_sel:[0,0,1] op_sel_hi:[1,0,0]
	v_pk_fma_f32 v[2:3], v[8:9], v[32:33], v[2:3] op_sel:[0,0,1] op_sel_hi:[1,0,0] neg_lo:[1,0,0] neg_hi:[1,0,0]
	v_pk_add_f32 v[8:9], v[24:25], v[26:27] neg_lo:[0,1] neg_hi:[0,1]
	v_mov_b32_e32 v28, v13
	v_pk_add_f32 v[34:35], v[34:35], v[40:41]
	v_pk_add_f32 v[40:41], v[26:27], v[24:25]
	;; [unrolled: 1-line block ×3, first 2 shown]
	v_mov_b32_e32 v47, v3
	v_pk_add_f32 v[32:33], v[20:21], v[30:31] neg_lo:[0,1] neg_hi:[0,1]
	s_mov_b32 s15, s2
	v_pk_add_f32 v[12:13], v[12:13], v[28:29]
	v_fma_f32 v29, -0.5, v45, v3
	v_fmac_f32_e32 v3, -0.5, v41
	v_mov_b32_e32 v7, v8
	v_fma_f32 v44, -0.5, v44, v46
	v_mov_b32_e32 v43, v33
	v_fmamk_f32 v16, v32, 0x3f737871, v3
	v_pk_mul_f32 v[6:7], v[6:7], s[14:15]
	v_fmac_f32_e32 v3, 0xbf737871, v32
	v_fmamk_f32 v2, v9, 0x3f737871, v44
	v_pk_mul_f32 v[42:43], v[42:43], s[14:15]
	v_mov_b32_e32 v13, v32
	v_sub_f32_e32 v16, v16, v7
	v_add_f32_e32 v3, v7, v3
	v_fmac_f32_e32 v44, 0xbf737871, v9
	v_fmamk_f32 v28, v8, 0xbf737871, v29
	v_pk_mul_f32 v[12:13], v[12:13], s[14:15]
	v_add_f32_e32 v16, v6, v16
	v_add_f32_e32 v6, v6, v3
	v_sub_f32_e32 v3, v44, v43
	v_fmac_f32_e32 v29, 0x3f737871, v8
	v_sub_f32_e32 v28, v28, v13
	v_add_f32_e32 v32, v42, v3
	v_add_f32_e32 v3, v13, v29
	s_mov_b32 s18, 0x3f4f1bbd
	v_add_f32_e32 v28, v12, v28
	v_add_f32_e32 v8, v12, v3
	v_pk_add_f32 v[12:13], v[24:25], v[46:47]
	s_mov_b32 s3, s18
	v_pk_add_f32 v[0:1], v[58:59], v[0:1]
	v_mov_b32_e32 v35, v9
	v_mov_b32_e32 v45, v46
	v_pk_add_f32 v[12:13], v[20:21], v[12:13]
	s_mov_b32 s19, s2
	v_pk_mul_f32 v[8:9], v[8:9], s[2:3] op_sel_hi:[0,1]
	v_pk_add_f32 v[0:1], v[10:11], v[0:1]
	v_fmac_f32_e32 v45, -0.5, v40
	v_pk_add_f32 v[12:13], v[30:31], v[12:13]
	v_pk_fma_f32 v[20:21], v[32:33], s[18:19], v[8:9] neg_lo:[0,0,1] neg_hi:[0,0,1]
	v_pk_fma_f32 v[8:9], v[32:33], s[18:19], v[8:9] op_sel_hi:[0,1,1]
	v_pk_add_f32 v[0:1], v[14:15], v[0:1]
	v_pk_mul_f32 v[34:35], v[34:35], s[14:15]
	v_fmamk_f32 v40, v33, 0xbf737871, v45
	v_fmac_f32_e32 v45, 0x3f737871, v33
	v_pk_add_f32 v[12:13], v[26:27], v[12:13]
	v_mov_b32_e32 v21, v9
	v_pk_add_f32 v[0:1], v[4:5], v[0:1]
	v_add_f32_e32 v40, v35, v40
	v_sub_f32_e32 v17, v45, v35
	v_pk_add_f32 v[4:5], v[0:1], v[12:13] neg_lo:[0,1] neg_hi:[0,1]
	v_pk_add_f32 v[0:1], v[0:1], v[12:13]
	v_pk_add_f32 v[8:9], v[36:37], v[20:21]
	s_mov_b32 s5, s14
	v_add_f32_e32 v40, v34, v40
	v_add_f32_e32 v34, v34, v17
	ds_write2_b64 v52, v[0:1], v[8:9] offset1:66
	s_mov_b32 s15, s4
	v_pk_mul_f32 v[0:1], v[6:7], s[4:5] op_sel_hi:[0,1]
	v_pk_fma_f32 v[6:7], v[34:35], s[14:15], v[0:1] neg_lo:[0,0,1] neg_hi:[0,0,1]
	v_pk_fma_f32 v[0:1], v[34:35], s[14:15], v[0:1] op_sel_hi:[0,1,1]
	s_mov_b32 s14, 0xbe9e377a
	v_pk_mul_f32 v[8:9], v[16:17], s[4:5] op_sel_hi:[0,1]
	v_mov_b32_e32 v7, v1
	v_pk_fma_f32 v[8:9], v[40:41], s[14:15], v[8:9] op_sel_hi:[0,1,1] neg_lo:[0,0,1] neg_hi:[0,0,1]
	v_add_f32_e32 v2, v43, v2
	v_pk_add_f32 v[0:1], v[38:39], v[6:7]
	v_pk_add_f32 v[10:11], v[22:23], v[8:9]
	v_add_f32_e32 v2, v42, v2
	ds_write2_b64 v52, v[0:1], v[10:11] offset0:132 offset1:198
	s_mov_b32 s4, 0xbf4f1bbd
	s_mov_b32 s5, s2
	v_pk_mul_f32 v[0:1], v[28:29], s[2:3] op_sel_hi:[0,1]
	v_pk_fma_f32 v[0:1], v[2:3], s[4:5], v[0:1] op_sel_hi:[0,1,1] neg_lo:[0,0,1] neg_hi:[0,0,1]
	v_pk_add_f32 v[2:3], v[18:19], v[0:1]
	v_add_u32_e32 v10, 0x800, v52
	ds_write2_b64 v10, v[2:3], v[4:5] offset0:8 offset1:74
	v_pk_add_f32 v[2:3], v[36:37], v[20:21] neg_lo:[0,1] neg_hi:[0,1]
	v_pk_add_f32 v[4:5], v[38:39], v[6:7] neg_lo:[0,1] neg_hi:[0,1]
	ds_write2_b64 v10, v[2:3], v[4:5] offset0:140 offset1:206
	v_pk_add_f32 v[2:3], v[22:23], v[8:9] neg_lo:[0,1] neg_hi:[0,1]
	v_pk_add_f32 v[0:1], v[18:19], v[0:1] neg_lo:[0,1] neg_hi:[0,1]
	v_add_u32_e32 v4, 0x1000, v52
	ds_write2_b64 v4, v[2:3], v[0:1] offset0:16 offset1:82
.LBB0_21:
	s_or_b64 exec, exec, s[0:1]
	s_waitcnt lgkmcnt(0)
	s_barrier
	s_and_b64 exec, exec, s[6:7]
	s_cbranch_execz .LBB0_23
; %bb.22:
	global_load_dwordx2 v[8:9], v52, s[12:13]
	global_load_dwordx2 v[10:11], v52, s[12:13] offset:480
	global_load_dwordx2 v[12:13], v52, s[12:13] offset:960
	;; [unrolled: 1-line block ×3, first 2 shown]
	ds_read_b64 v[16:17], v52
	global_load_dwordx2 v[22:23], v52, s[12:13] offset:1920
	ds_read2_b64 v[0:3], v52 offset0:60 offset1:120
	ds_read2_b64 v[4:7], v52 offset0:180 offset1:240
	global_load_dwordx2 v[26:27], v52, s[12:13] offset:2400
	global_load_dwordx2 v[28:29], v52, s[12:13] offset:2880
	;; [unrolled: 1-line block ×4, first 2 shown]
	v_mad_u64_u32 v[20:21], s[0:1], s10, v54, 0
	v_mad_u64_u32 v[24:25], s[2:3], s8, v55, 0
	v_mov_b32_e32 v34, v21
	v_mov_b32_e32 v38, v25
	v_mad_u64_u32 v[34:35], s[4:5], s11, v54, v[34:35]
	v_mov_b32_e32 v18, s16
	v_mov_b32_e32 v19, s17
	;; [unrolled: 3-line block ×3, first 2 shown]
	v_lshl_add_u64 v[18:19], v[20:21], 3, v[18:19]
	s_mov_b32 s0, 0x8d3018d3
	v_mov_b32_e32 v40, 0x1e0
	v_lshl_add_u64 v[18:19], v[24:25], 3, v[18:19]
	s_mov_b32 s1, 0x3f58d301
	s_mul_i32 s2, s9, 0x1e0
	v_mad_u64_u32 v[20:21], s[4:5], s8, v40, v[18:19]
	v_mov_b32_e32 v53, 0
	v_add_u32_e32 v21, s2, v21
	s_movk_i32 s3, 0x1000
	v_lshl_add_u64 v[36:37], s[12:13], 0, v[52:53]
	v_mad_u64_u32 v[24:25], s[4:5], s8, v40, v[20:21]
	v_add_u32_e32 v25, s2, v25
	s_waitcnt vmcnt(8) lgkmcnt(2)
	v_mul_f32_e32 v34, v17, v9
	v_mul_f32_e32 v9, v16, v9
	s_waitcnt vmcnt(7) lgkmcnt(1)
	v_mul_f32_e32 v35, v1, v11
	v_mul_f32_e32 v11, v0, v11
	s_waitcnt vmcnt(6)
	v_mul_f32_e32 v38, v3, v13
	v_mul_f32_e32 v13, v2, v13
	s_waitcnt vmcnt(5) lgkmcnt(0)
	v_mul_f32_e32 v39, v5, v15
	v_mul_f32_e32 v15, v4, v15
	v_fmac_f32_e32 v34, v16, v8
	v_fma_f32 v8, v8, v17, -v9
	v_fmac_f32_e32 v35, v0, v10
	v_fma_f32 v9, v10, v1, -v11
	;; [unrolled: 2-line block ×4, first 2 shown]
	v_cvt_f64_f32_e32 v[0:1], v34
	v_cvt_f64_f32_e32 v[2:3], v8
	v_cvt_f64_f32_e32 v[4:5], v35
	v_cvt_f64_f32_e32 v[8:9], v9
	v_cvt_f64_f32_e32 v[10:11], v38
	v_cvt_f64_f32_e32 v[12:13], v12
	v_mul_f64 v[0:1], v[0:1], s[0:1]
	v_mul_f64 v[2:3], v[2:3], s[0:1]
	v_mul_f64 v[4:5], v[4:5], s[0:1]
	v_mul_f64 v[8:9], v[8:9], s[0:1]
	v_mul_f64 v[10:11], v[10:11], s[0:1]
	v_mul_f64 v[12:13], v[12:13], s[0:1]
	v_cvt_f32_f64_e32 v0, v[0:1]
	v_cvt_f32_f64_e32 v1, v[2:3]
	;; [unrolled: 1-line block ×6, first 2 shown]
	global_store_dwordx2 v[18:19], v[0:1], off
	global_store_dwordx2 v[20:21], v[2:3], off
	;; [unrolled: 1-line block ×3, first 2 shown]
	v_add_co_u32_e32 v0, vcc, s3, v36
	s_waitcnt vmcnt(7)
	v_mul_f32_e32 v2, v7, v23
	v_cvt_f64_f32_e32 v[14:15], v39
	v_cvt_f64_f32_e32 v[16:17], v16
	v_addc_co_u32_e32 v1, vcc, 0, v37, vcc
	v_fmac_f32_e32 v2, v6, v22
	v_mul_f64 v[14:15], v[14:15], s[0:1]
	v_mul_f64 v[16:17], v[16:17], s[0:1]
	global_load_dwordx2 v[4:5], v[0:1], off offset:224
	v_mad_u64_u32 v[10:11], s[4:5], s8, v40, v[24:25]
	v_cvt_f64_f32_e32 v[2:3], v2
	v_cvt_f32_f64_e32 v8, v[14:15]
	v_cvt_f32_f64_e32 v9, v[16:17]
	v_add_u32_e32 v11, s2, v11
	v_mul_f64 v[2:3], v[2:3], s[0:1]
	global_store_dwordx2 v[10:11], v[8:9], off
	v_cvt_f32_f64_e32 v8, v[2:3]
	v_mul_f32_e32 v2, v6, v23
	v_fma_f32 v2, v22, v7, -v2
	global_load_dwordx2 v[6:7], v[0:1], off offset:704
	v_cvt_f64_f32_e32 v[2:3], v2
	v_mul_f64 v[2:3], v[2:3], s[0:1]
	v_add_u32_e32 v12, 0x800, v52
	v_cvt_f32_f64_e32 v9, v[2:3]
	ds_read2_b64 v[0:3], v12 offset0:44 offset1:104
	v_mad_u64_u32 v[10:11], s[4:5], s8, v40, v[10:11]
	v_add_u32_e32 v11, s2, v11
	global_store_dwordx2 v[10:11], v[8:9], off
	s_waitcnt vmcnt(10) lgkmcnt(0)
	v_mul_f32_e32 v8, v1, v27
	v_fmac_f32_e32 v8, v0, v26
	v_mul_f32_e32 v0, v0, v27
	v_fma_f32 v0, v26, v1, -v0
	v_cvt_f64_f32_e32 v[8:9], v8
	v_cvt_f64_f32_e32 v[0:1], v0
	v_mul_f64 v[8:9], v[8:9], s[0:1]
	v_mul_f64 v[0:1], v[0:1], s[0:1]
	v_cvt_f32_f64_e32 v8, v[8:9]
	v_cvt_f32_f64_e32 v9, v[0:1]
	s_waitcnt vmcnt(9)
	v_mul_f32_e32 v0, v3, v29
	v_fmac_f32_e32 v0, v2, v28
	v_mad_u64_u32 v[10:11], s[4:5], s8, v40, v[10:11]
	v_cvt_f64_f32_e32 v[0:1], v0
	v_add_u32_e32 v11, s2, v11
	v_mul_f64 v[0:1], v[0:1], s[0:1]
	global_store_dwordx2 v[10:11], v[8:9], off
	v_cvt_f32_f64_e32 v8, v[0:1]
	v_mul_f32_e32 v0, v2, v29
	v_fma_f32 v0, v28, v3, -v0
	v_cvt_f64_f32_e32 v[0:1], v0
	v_mul_f64 v[0:1], v[0:1], s[0:1]
	v_cvt_f32_f64_e32 v9, v[0:1]
	ds_read2_b64 v[0:3], v12 offset0:164 offset1:224
	v_mad_u64_u32 v[10:11], s[4:5], s8, v40, v[10:11]
	v_add_u32_e32 v11, s2, v11
	global_store_dwordx2 v[10:11], v[8:9], off
	s_waitcnt vmcnt(10) lgkmcnt(0)
	v_mul_f32_e32 v8, v1, v31
	v_fmac_f32_e32 v8, v0, v30
	v_mul_f32_e32 v0, v0, v31
	v_fma_f32 v0, v30, v1, -v0
	v_cvt_f64_f32_e32 v[8:9], v8
	v_cvt_f64_f32_e32 v[0:1], v0
	v_mul_f64 v[8:9], v[8:9], s[0:1]
	v_mul_f64 v[0:1], v[0:1], s[0:1]
	v_cvt_f32_f64_e32 v8, v[8:9]
	v_cvt_f32_f64_e32 v9, v[0:1]
	s_waitcnt vmcnt(9)
	v_mul_f32_e32 v0, v3, v33
	v_fmac_f32_e32 v0, v2, v32
	v_mad_u64_u32 v[10:11], s[4:5], s8, v40, v[10:11]
	v_cvt_f64_f32_e32 v[0:1], v0
	v_add_u32_e32 v11, s2, v11
	v_mul_f64 v[0:1], v[0:1], s[0:1]
	global_store_dwordx2 v[10:11], v[8:9], off
	v_cvt_f32_f64_e32 v8, v[0:1]
	v_mul_f32_e32 v0, v2, v33
	v_fma_f32 v0, v32, v3, -v0
	v_cvt_f64_f32_e32 v[0:1], v0
	v_mul_f64 v[0:1], v[0:1], s[0:1]
	v_cvt_f32_f64_e32 v9, v[0:1]
	v_add_u32_e32 v0, 0x1000, v52
	ds_read2_b64 v[0:3], v0 offset0:28 offset1:88
	v_mad_u64_u32 v[10:11], s[4:5], s8, v40, v[10:11]
	v_add_u32_e32 v11, s2, v11
	global_store_dwordx2 v[10:11], v[8:9], off
	s_waitcnt vmcnt(7) lgkmcnt(0)
	v_mul_f32_e32 v8, v1, v5
	v_fmac_f32_e32 v8, v0, v4
	v_mul_f32_e32 v0, v0, v5
	v_fma_f32 v0, v4, v1, -v0
	v_cvt_f64_f32_e32 v[8:9], v8
	v_cvt_f64_f32_e32 v[0:1], v0
	v_mul_f64 v[8:9], v[8:9], s[0:1]
	v_mul_f64 v[0:1], v[0:1], s[0:1]
	v_cvt_f32_f64_e32 v8, v[8:9]
	v_cvt_f32_f64_e32 v9, v[0:1]
	v_mad_u64_u32 v[0:1], s[4:5], s8, v40, v[10:11]
	s_waitcnt vmcnt(5)
	v_mul_f32_e32 v4, v3, v7
	v_fmac_f32_e32 v4, v2, v6
	v_mul_f32_e32 v2, v2, v7
	v_fma_f32 v2, v6, v3, -v2
	v_add_u32_e32 v1, s2, v1
	v_cvt_f64_f32_e32 v[4:5], v4
	v_cvt_f64_f32_e32 v[2:3], v2
	global_store_dwordx2 v[0:1], v[8:9], off
	v_mul_f64 v[4:5], v[4:5], s[0:1]
	v_mul_f64 v[2:3], v[2:3], s[0:1]
	v_mad_u64_u32 v[0:1], s[0:1], s8, v40, v[0:1]
	v_cvt_f32_f64_e32 v4, v[4:5]
	v_cvt_f32_f64_e32 v5, v[2:3]
	v_add_u32_e32 v1, s2, v1
	global_store_dwordx2 v[0:1], v[4:5], off
.LBB0_23:
	s_endpgm
	.section	.rodata,"a",@progbits
	.p2align	6, 0x0
	.amdhsa_kernel bluestein_single_fwd_len660_dim1_sp_op_CI_CI
		.amdhsa_group_segment_fixed_size 5280
		.amdhsa_private_segment_fixed_size 0
		.amdhsa_kernarg_size 104
		.amdhsa_user_sgpr_count 2
		.amdhsa_user_sgpr_dispatch_ptr 0
		.amdhsa_user_sgpr_queue_ptr 0
		.amdhsa_user_sgpr_kernarg_segment_ptr 1
		.amdhsa_user_sgpr_dispatch_id 0
		.amdhsa_user_sgpr_kernarg_preload_length 0
		.amdhsa_user_sgpr_kernarg_preload_offset 0
		.amdhsa_user_sgpr_private_segment_size 0
		.amdhsa_uses_dynamic_stack 0
		.amdhsa_enable_private_segment 0
		.amdhsa_system_sgpr_workgroup_id_x 1
		.amdhsa_system_sgpr_workgroup_id_y 0
		.amdhsa_system_sgpr_workgroup_id_z 0
		.amdhsa_system_sgpr_workgroup_info 0
		.amdhsa_system_vgpr_workitem_id 0
		.amdhsa_next_free_vgpr 198
		.amdhsa_next_free_sgpr 48
		.amdhsa_accum_offset 200
		.amdhsa_reserve_vcc 1
		.amdhsa_float_round_mode_32 0
		.amdhsa_float_round_mode_16_64 0
		.amdhsa_float_denorm_mode_32 3
		.amdhsa_float_denorm_mode_16_64 3
		.amdhsa_dx10_clamp 1
		.amdhsa_ieee_mode 1
		.amdhsa_fp16_overflow 0
		.amdhsa_tg_split 0
		.amdhsa_exception_fp_ieee_invalid_op 0
		.amdhsa_exception_fp_denorm_src 0
		.amdhsa_exception_fp_ieee_div_zero 0
		.amdhsa_exception_fp_ieee_overflow 0
		.amdhsa_exception_fp_ieee_underflow 0
		.amdhsa_exception_fp_ieee_inexact 0
		.amdhsa_exception_int_div_zero 0
	.end_amdhsa_kernel
	.text
.Lfunc_end0:
	.size	bluestein_single_fwd_len660_dim1_sp_op_CI_CI, .Lfunc_end0-bluestein_single_fwd_len660_dim1_sp_op_CI_CI
                                        ; -- End function
	.section	.AMDGPU.csdata,"",@progbits
; Kernel info:
; codeLenInByte = 10416
; NumSgprs: 54
; NumVgprs: 198
; NumAgprs: 0
; TotalNumVgprs: 198
; ScratchSize: 0
; MemoryBound: 0
; FloatMode: 240
; IeeeMode: 1
; LDSByteSize: 5280 bytes/workgroup (compile time only)
; SGPRBlocks: 6
; VGPRBlocks: 24
; NumSGPRsForWavesPerEU: 54
; NumVGPRsForWavesPerEU: 198
; AccumOffset: 200
; Occupancy: 2
; WaveLimiterHint : 1
; COMPUTE_PGM_RSRC2:SCRATCH_EN: 0
; COMPUTE_PGM_RSRC2:USER_SGPR: 2
; COMPUTE_PGM_RSRC2:TRAP_HANDLER: 0
; COMPUTE_PGM_RSRC2:TGID_X_EN: 1
; COMPUTE_PGM_RSRC2:TGID_Y_EN: 0
; COMPUTE_PGM_RSRC2:TGID_Z_EN: 0
; COMPUTE_PGM_RSRC2:TIDIG_COMP_CNT: 0
; COMPUTE_PGM_RSRC3_GFX90A:ACCUM_OFFSET: 49
; COMPUTE_PGM_RSRC3_GFX90A:TG_SPLIT: 0
	.text
	.p2alignl 6, 3212836864
	.fill 256, 4, 3212836864
	.type	__hip_cuid_120eda49d125525e,@object ; @__hip_cuid_120eda49d125525e
	.section	.bss,"aw",@nobits
	.globl	__hip_cuid_120eda49d125525e
__hip_cuid_120eda49d125525e:
	.byte	0                               ; 0x0
	.size	__hip_cuid_120eda49d125525e, 1

	.ident	"AMD clang version 19.0.0git (https://github.com/RadeonOpenCompute/llvm-project roc-6.4.0 25133 c7fe45cf4b819c5991fe208aaa96edf142730f1d)"
	.section	".note.GNU-stack","",@progbits
	.addrsig
	.addrsig_sym __hip_cuid_120eda49d125525e
	.amdgpu_metadata
---
amdhsa.kernels:
  - .agpr_count:     0
    .args:
      - .actual_access:  read_only
        .address_space:  global
        .offset:         0
        .size:           8
        .value_kind:     global_buffer
      - .actual_access:  read_only
        .address_space:  global
        .offset:         8
        .size:           8
        .value_kind:     global_buffer
      - .actual_access:  read_only
        .address_space:  global
        .offset:         16
        .size:           8
        .value_kind:     global_buffer
      - .actual_access:  read_only
        .address_space:  global
        .offset:         24
        .size:           8
        .value_kind:     global_buffer
      - .actual_access:  read_only
        .address_space:  global
        .offset:         32
        .size:           8
        .value_kind:     global_buffer
      - .offset:         40
        .size:           8
        .value_kind:     by_value
      - .address_space:  global
        .offset:         48
        .size:           8
        .value_kind:     global_buffer
      - .address_space:  global
        .offset:         56
        .size:           8
        .value_kind:     global_buffer
      - .address_space:  global
        .offset:         64
        .size:           8
        .value_kind:     global_buffer
      - .address_space:  global
        .offset:         72
        .size:           8
        .value_kind:     global_buffer
      - .offset:         80
        .size:           4
        .value_kind:     by_value
      - .address_space:  global
        .offset:         88
        .size:           8
        .value_kind:     global_buffer
      - .address_space:  global
        .offset:         96
        .size:           8
        .value_kind:     global_buffer
    .group_segment_fixed_size: 5280
    .kernarg_segment_align: 8
    .kernarg_segment_size: 104
    .language:       OpenCL C
    .language_version:
      - 2
      - 0
    .max_flat_workgroup_size: 110
    .name:           bluestein_single_fwd_len660_dim1_sp_op_CI_CI
    .private_segment_fixed_size: 0
    .sgpr_count:     54
    .sgpr_spill_count: 0
    .symbol:         bluestein_single_fwd_len660_dim1_sp_op_CI_CI.kd
    .uniform_work_group_size: 1
    .uses_dynamic_stack: false
    .vgpr_count:     198
    .vgpr_spill_count: 0
    .wavefront_size: 64
amdhsa.target:   amdgcn-amd-amdhsa--gfx950
amdhsa.version:
  - 1
  - 2
...

	.end_amdgpu_metadata
